;; amdgpu-corpus repo=ROCm/rocFFT kind=compiled arch=gfx1201 opt=O3
	.text
	.amdgcn_target "amdgcn-amd-amdhsa--gfx1201"
	.amdhsa_code_object_version 6
	.protected	bluestein_single_back_len238_dim1_dp_op_CI_CI ; -- Begin function bluestein_single_back_len238_dim1_dp_op_CI_CI
	.globl	bluestein_single_back_len238_dim1_dp_op_CI_CI
	.p2align	8
	.type	bluestein_single_back_len238_dim1_dp_op_CI_CI,@function
bluestein_single_back_len238_dim1_dp_op_CI_CI: ; @bluestein_single_back_len238_dim1_dp_op_CI_CI
; %bb.0:
	s_load_b128 s[8:11], s[0:1], 0x28
	v_mul_u32_u24_e32 v1, 0xf10, v0
	s_mov_b32 s2, exec_lo
	s_delay_alu instid0(VALU_DEP_1) | instskip(NEXT) | instid1(VALU_DEP_1)
	v_lshrrev_b32_e32 v1, 16, v1
	v_mad_co_u64_u32 v[3:4], null, ttmp9, 3, v[1:2]
	v_mov_b32_e32 v4, 0
	s_wait_kmcnt 0x0
	s_delay_alu instid0(VALU_DEP_1)
	v_cmpx_gt_u64_e64 s[8:9], v[3:4]
	s_cbranch_execz .LBB0_15
; %bb.1:
	v_mul_hi_u32 v2, 0xaaaaaaab, v3
	v_mul_lo_u16 v1, v1, 17
	s_clause 0x1
	s_load_b64 s[8:9], s[0:1], 0x0
	s_load_b64 s[12:13], s[0:1], 0x38
	s_delay_alu instid0(VALU_DEP_1) | instskip(SKIP_1) | instid1(VALU_DEP_4)
	v_sub_nc_u16 v0, v0, v1
	v_mov_b32_e32 v1, v3
	v_lshrrev_b32_e32 v2, 1, v2
	s_delay_alu instid0(VALU_DEP_3) | instskip(SKIP_1) | instid1(VALU_DEP_3)
	v_and_b32_e32 v244, 0xffff, v0
	v_cmp_gt_u16_e32 vcc_lo, 14, v0
	v_lshl_add_u32 v2, v2, 1, v2
	s_delay_alu instid0(VALU_DEP_3)
	v_or_b32_e32 v0, 0xe0, v244
	v_lshlrev_b32_e32 v242, 4, v244
	scratch_store_b64 off, v[1:2], off      ; 8-byte Folded Spill
	v_sub_nc_u32_e32 v1, v3, v2
	v_or_b32_e32 v243, 0x70, v244
	scratch_store_b32 off, v0, off offset:8 ; 4-byte Folded Spill
	v_mul_u32_u24_e32 v132, 0xee, v1
	s_delay_alu instid0(VALU_DEP_1)
	v_lshlrev_b32_e32 v255, 4, v132
	s_and_saveexec_b32 s3, vcc_lo
	s_cbranch_execz .LBB0_3
; %bb.2:
	scratch_load_b64 v[0:1], off, off       ; 8-byte Folded Reload
	s_load_b64 s[4:5], s[0:1], 0x18
	v_or_b32_e32 v44, 0xe0, v244
	s_wait_kmcnt 0x0
	s_load_b128 s[4:7], s[4:5], 0x0
	s_wait_kmcnt 0x0
	v_mad_co_u64_u32 v[40:41], null, s4, v244, 0
	v_mad_co_u64_u32 v[48:49], null, s4, v243, 0
	;; [unrolled: 1-line block ×3, first 2 shown]
	s_wait_loadcnt 0x0
	s_delay_alu instid0(VALU_DEP_3) | instskip(NEXT) | instid1(VALU_DEP_1)
	v_dual_mov_b32 v1, v41 :: v_dual_mov_b32 v2, v0
	v_mad_co_u64_u32 v[24:25], null, s6, v2, 0
	s_delay_alu instid0(VALU_DEP_2) | instskip(NEXT) | instid1(VALU_DEP_1)
	v_mad_co_u64_u32 v[26:27], null, s5, v244, v[1:2]
	v_dual_mov_b32 v0, v25 :: v_dual_mov_b32 v41, v26
	s_delay_alu instid0(VALU_DEP_1) | instskip(NEXT) | instid1(VALU_DEP_2)
	v_mad_co_u64_u32 v[8:9], null, s7, v2, v[0:1]
	v_lshlrev_b64_e32 v[40:41], 4, v[40:41]
	s_mul_u64 s[6:7], s[4:5], 0xe0
	s_clause 0x1
	global_load_b128 v[0:3], v242, s[8:9]
	global_load_b128 v[4:7], v242, s[8:9] offset:224
	v_mov_b32_e32 v25, v8
	s_clause 0x3
	global_load_b128 v[8:11], v242, s[8:9] offset:448
	global_load_b128 v[12:15], v242, s[8:9] offset:672
	;; [unrolled: 1-line block ×4, first 2 shown]
	v_lshlrev_b64_e32 v[42:43], 4, v[24:25]
	s_clause 0x3
	global_load_b128 v[24:27], v242, s[8:9] offset:1344
	global_load_b128 v[28:31], v242, s[8:9] offset:1568
	;; [unrolled: 1-line block ×4, first 2 shown]
	v_add_co_u32 v62, s2, s10, v42
	s_delay_alu instid0(VALU_DEP_1) | instskip(NEXT) | instid1(VALU_DEP_2)
	v_add_co_ci_u32_e64 v63, s2, s11, v43, s2
	v_add_co_u32 v68, s2, v62, v40
	v_mov_b32_e32 v40, v49
	s_wait_alu 0xf1ff
	s_delay_alu instid0(VALU_DEP_3) | instskip(SKIP_3) | instid1(VALU_DEP_2)
	v_add_co_ci_u32_e64 v69, s2, v63, v41, s2
	s_wait_alu 0xfffe
	v_add_co_u32 v72, s2, v68, s6
	s_wait_alu 0xf1ff
	v_add_co_ci_u32_e64 v73, s2, s7, v69, s2
	s_delay_alu instid0(VALU_DEP_2) | instskip(SKIP_1) | instid1(VALU_DEP_2)
	v_add_co_u32 v76, s2, v72, s6
	s_wait_alu 0xf1ff
	v_add_co_ci_u32_e64 v77, s2, s7, v73, s2
	s_delay_alu instid0(VALU_DEP_2) | instskip(SKIP_1) | instid1(VALU_DEP_2)
	;; [unrolled: 4-line block ×6, first 2 shown]
	v_add_co_u32 v96, s2, v92, s6
	s_wait_alu 0xf1ff
	v_add_co_ci_u32_e64 v97, s2, s7, v93, s2
	s_delay_alu instid0(VALU_DEP_1) | instskip(NEXT) | instid1(VALU_DEP_1)
	v_mad_co_u64_u32 v[100:101], null, 0x1c0, s4, v[96:97]
	v_dual_mov_b32 v41, v57 :: v_dual_mov_b32 v64, v101
	s_delay_alu instid0(VALU_DEP_1) | instskip(NEXT) | instid1(VALU_DEP_1)
	v_mad_co_u64_u32 v[42:43], null, s5, v243, v[40:41]
	v_mad_co_u64_u32 v[50:51], null, s5, v44, v[41:42]
	v_mov_b32_e32 v49, v42
	s_clause 0x1
	global_load_b128 v[40:43], v242, s[8:9] offset:2240
	global_load_b128 v[44:47], v242, s[8:9] offset:2464
	v_lshlrev_b64_e32 v[58:59], 4, v[48:49]
	v_mov_b32_e32 v57, v50
	s_clause 0x1
	global_load_b128 v[48:51], v242, s[8:9] offset:2688
	global_load_b128 v[52:55], v242, s[8:9] offset:2912
	v_add_co_u32 v60, s2, v62, v58
	v_lshlrev_b64_e32 v[56:57], 4, v[56:57]
	s_wait_alu 0xf1ff
	v_add_co_ci_u32_e64 v61, s2, v63, v59, s2
	s_delay_alu instid0(VALU_DEP_2) | instskip(SKIP_1) | instid1(VALU_DEP_3)
	v_add_co_u32 v65, s2, v62, v56
	s_wait_alu 0xf1ff
	v_add_co_ci_u32_e64 v66, s2, v63, v57, s2
	v_add_co_u32 v104, s2, v100, s6
	s_delay_alu instid0(VALU_DEP_3)
	v_mad_co_u64_u32 v[94:95], null, 0x1c0, s5, v[64:65]
	global_load_b128 v[56:59], v242, s[8:9] offset:3584
	s_clause 0x6
	global_load_b128 v[60:63], v[60:61], off
	global_load_b128 v[64:67], v[65:66], off
	;; [unrolled: 1-line block ×9, first 2 shown]
	v_mov_b32_e32 v101, v94
	global_load_b128 v[92:95], v[92:93], off
	s_wait_alu 0xf1ff
	v_add_co_ci_u32_e64 v105, s2, s7, v101, s2
	v_add_co_u32 v108, s2, v104, s6
	global_load_b128 v[100:103], v[100:101], off
	s_wait_alu 0xf1ff
	v_add_co_ci_u32_e64 v109, s2, s7, v105, s2
	v_add_co_u32 v112, s2, v108, s6
	;; [unrolled: 4-line block ×5, first 2 shown]
	s_wait_alu 0xf1ff
	s_delay_alu instid0(VALU_DEP_2)
	v_add_co_ci_u32_e64 v134, s2, s7, v121, s2
	global_load_b128 v[116:119], v[116:117], off
	global_load_b128 v[120:123], v[120:121], off
	s_clause 0x1
	global_load_b128 v[124:127], v242, s[8:9] offset:3136
	global_load_b128 v[128:131], v242, s[8:9] offset:3360
	global_load_b128 v[133:136], v[133:134], off
	s_wait_loadcnt 0x10
	v_mul_f64_e32 v[137:138], v[70:71], v[2:3]
	v_mul_f64_e32 v[2:3], v[68:69], v[2:3]
	s_wait_loadcnt 0xf
	v_mul_f64_e32 v[143:144], v[74:75], v[6:7]
	v_mul_f64_e32 v[145:146], v[72:73], v[6:7]
	;; [unrolled: 1-line block ×4, first 2 shown]
	s_wait_loadcnt 0xe
	v_mul_f64_e32 v[147:148], v[78:79], v[10:11]
	v_mul_f64_e32 v[10:11], v[76:77], v[10:11]
	s_wait_loadcnt 0xd
	v_mul_f64_e32 v[149:150], v[82:83], v[14:15]
	v_mul_f64_e32 v[14:15], v[80:81], v[14:15]
	;; [unrolled: 3-line block ×5, first 2 shown]
	v_mul_f64_e32 v[157:158], v[98:99], v[30:31]
	v_mul_f64_e32 v[159:160], v[96:97], v[30:31]
	;; [unrolled: 1-line block ×3, first 2 shown]
	s_wait_loadcnt 0x8
	v_mul_f64_e32 v[161:162], v[102:103], v[38:39]
	v_mul_f64_e32 v[38:39], v[100:101], v[38:39]
	;; [unrolled: 1-line block ×3, first 2 shown]
	s_wait_loadcnt 0x7
	v_mul_f64_e32 v[163:164], v[106:107], v[42:43]
	v_mul_f64_e32 v[42:43], v[104:105], v[42:43]
	s_wait_loadcnt 0x6
	v_mul_f64_e32 v[165:166], v[110:111], v[46:47]
	v_mul_f64_e32 v[46:47], v[108:109], v[46:47]
	;; [unrolled: 3-line block ×6, first 2 shown]
	v_fma_f64 v[68:69], v[68:69], v[0:1], v[137:138]
	v_fma_f64 v[70:71], v[70:71], v[0:1], -v[2:3]
	v_fma_f64 v[0:1], v[60:61], v[32:33], v[139:140]
	v_fma_f64 v[2:3], v[62:63], v[32:33], -v[34:35]
	;; [unrolled: 2-line block ×11, first 2 shown]
	v_fma_f64 v[6:7], v[64:65], v[56:57], v[141:142]
	v_fma_f64 v[42:43], v[108:109], v[44:45], v[165:166]
	v_fma_f64 v[44:45], v[110:111], v[44:45], -v[46:47]
	v_fma_f64 v[8:9], v[66:67], v[56:57], -v[175:176]
	v_lshl_add_u32 v4, v244, 4, v255
	v_add_nc_u32_e32 v5, v255, v242
	v_fma_f64 v[46:47], v[112:113], v[48:49], v[167:168]
	v_fma_f64 v[48:49], v[114:115], v[48:49], -v[50:51]
	v_fma_f64 v[50:51], v[116:117], v[52:53], v[169:170]
	v_fma_f64 v[52:53], v[118:119], v[52:53], -v[54:55]
	;; [unrolled: 2-line block ×4, first 2 shown]
	ds_store_b128 v4, v[68:71]
	ds_store_b128 v5, v[30:33] offset:224
	ds_store_b128 v5, v[58:61] offset:448
	;; [unrolled: 1-line block ×16, first 2 shown]
.LBB0_3:
	s_or_b32 exec_lo, exec_lo, s3
	s_clause 0x1
	s_load_b64 s[2:3], s[0:1], 0x20
	s_load_b64 s[0:1], s[0:1], 0x8
	global_wb scope:SCOPE_SE
	s_wait_storecnt_dscnt 0x0
	s_wait_kmcnt 0x0
	s_barrier_signal -1
	s_barrier_wait -1
	global_inv scope:SCOPE_SE
                                        ; implicit-def: $vgpr12_vgpr13
                                        ; implicit-def: $vgpr32_vgpr33
                                        ; implicit-def: $vgpr36_vgpr37
                                        ; implicit-def: $vgpr40_vgpr41
                                        ; implicit-def: $vgpr44_vgpr45
                                        ; implicit-def: $vgpr52_vgpr53
                                        ; implicit-def: $vgpr56_vgpr57
                                        ; implicit-def: $vgpr64_vgpr65
                                        ; implicit-def: $vgpr72_vgpr73
                                        ; implicit-def: $vgpr76_vgpr77
                                        ; implicit-def: $vgpr68_vgpr69
                                        ; implicit-def: $vgpr60_vgpr61
                                        ; implicit-def: $vgpr48_vgpr49
                                        ; implicit-def: $vgpr28_vgpr29
                                        ; implicit-def: $vgpr24_vgpr25
                                        ; implicit-def: $vgpr20_vgpr21
                                        ; implicit-def: $vgpr16_vgpr17
	s_and_saveexec_b32 s4, vcc_lo
	s_cbranch_execz .LBB0_5
; %bb.4:
	v_lshl_add_u32 v0, v132, 4, v242
	ds_load_b128 v[12:15], v0
	ds_load_b128 v[32:35], v0 offset:224
	ds_load_b128 v[36:39], v0 offset:448
	;; [unrolled: 1-line block ×16, first 2 shown]
.LBB0_5:
	s_wait_alu 0xfffe
	s_or_b32 exec_lo, exec_lo, s4
	s_wait_dscnt 0x0
	v_add_f64_e64 v[126:127], v[34:35], -v[18:19]
	v_add_f64_e64 v[133:134], v[32:33], -v[16:17]
	s_mov_b32 s4, 0x5d8e7cdc
	s_mov_b32 s6, 0x2a9d6da3
	;; [unrolled: 1-line block ×6, first 2 shown]
	v_add_f64_e32 v[116:117], v[32:33], v[16:17]
	v_add_f64_e32 v[128:129], v[34:35], v[18:19]
	v_add_f64_e64 v[82:83], v[38:39], -v[22:23]
	v_add_f64_e64 v[80:81], v[36:37], -v[20:21]
	s_mov_b32 s18, 0x370991
	s_mov_b32 s14, 0x75d4884
	;; [unrolled: 1-line block ×10, first 2 shown]
	v_add_f64_e32 v[84:85], v[36:37], v[20:21]
	v_add_f64_e32 v[86:87], v[38:39], v[22:23]
	v_add_f64_e64 v[122:123], v[42:43], -v[26:27]
	v_add_f64_e64 v[92:93], v[40:41], -v[24:25]
	s_mov_b32 s24, 0x3259b75e
	s_mov_b32 s30, 0xacd6c6b4
	;; [unrolled: 1-line block ×6, first 2 shown]
	v_add_f64_e32 v[94:95], v[40:41], v[24:25]
	v_add_f64_e32 v[98:99], v[42:43], v[26:27]
	v_add_f64_e64 v[102:103], v[44:45], -v[28:29]
	v_add_f64_e64 v[143:144], v[46:47], -v[30:31]
	s_mov_b32 s46, 0x923c349f
	s_mov_b32 s28, 0x7faef3
	s_wait_alu 0xfffe
	v_mul_f64_e32 v[151:152], s[4:5], v[126:127]
	v_mul_f64_e32 v[163:164], s[4:5], v[133:134]
	;; [unrolled: 1-line block ×6, first 2 shown]
	s_mov_b32 s43, 0xbfc7851a
	s_mov_b32 s47, 0x3feec746
	;; [unrolled: 1-line block ×4, first 2 shown]
	v_mul_f64_e32 v[88:89], s[6:7], v[82:83]
	v_mul_f64_e32 v[90:91], s[6:7], v[80:81]
	;; [unrolled: 1-line block ×6, first 2 shown]
	v_add_f64_e32 v[104:105], v[44:45], v[28:29]
	v_add_f64_e32 v[106:107], v[46:47], v[30:31]
	v_add_f64_e64 v[118:119], v[52:53], -v[48:49]
	v_add_f64_e64 v[167:168], v[54:55], -v[50:51]
	s_mov_b32 s34, 0xc61f0d01
	s_mov_b32 s40, 0x4363dd80
	;; [unrolled: 1-line block ×4, first 2 shown]
	v_mul_f64_e32 v[96:97], s[10:11], v[122:123]
	v_mul_f64_e32 v[100:101], s[10:11], v[92:93]
	;; [unrolled: 1-line block ×6, first 2 shown]
	s_mov_b32 s41, 0x3fe0d888
	s_mov_b32 s45, 0x3fe58eea
	;; [unrolled: 1-line block ×4, first 2 shown]
	v_mul_f64_e32 v[110:111], s[26:27], v[102:103]
	v_mul_f64_e32 v[108:109], s[26:27], v[143:144]
	v_mul_f64_e32 v[203:204], s[42:43], v[143:144]
	v_mul_f64_e32 v[205:206], s[42:43], v[102:103]
	v_fma_f64 v[0:1], v[116:117], s[18:19], v[151:152]
	v_fma_f64 v[2:3], v[128:129], s[18:19], -v[163:164]
	v_fma_f64 v[4:5], v[116:117], s[14:15], v[173:174]
	v_fma_f64 v[6:7], v[128:129], s[14:15], -v[175:176]
	;; [unrolled: 2-line block ×3, first 2 shown]
	v_mul_f64_e32 v[195:196], s[46:47], v[143:144]
	v_mul_f64_e32 v[199:200], s[46:47], v[102:103]
	v_add_f64_e64 v[141:142], v[56:57], -v[60:61]
	v_add_f64_e64 v[171:172], v[58:59], -v[62:63]
	v_fma_f64 v[112:113], v[84:85], s[14:15], v[88:89]
	v_fma_f64 v[114:115], v[86:87], s[14:15], -v[90:91]
	v_fma_f64 v[120:121], v[84:85], s[24:25], v[187:188]
	v_fma_f64 v[124:125], v[86:87], s[24:25], -v[189:190]
	;; [unrolled: 2-line block ×3, first 2 shown]
	s_mov_b32 s36, 0x910ea3b9
	s_mov_b32 s37, 0xbfeb34fa
	v_mul_f64_e32 v[217:218], s[40:41], v[118:119]
	v_mul_f64_e32 v[213:214], s[40:41], v[167:168]
	;; [unrolled: 1-line block ×4, first 2 shown]
	v_add_f64_e64 v[155:156], v[64:65], -v[68:69]
	v_add_f64_e64 v[179:180], v[66:67], -v[70:71]
	v_fma_f64 v[137:138], v[94:95], s[16:17], v[96:97]
	v_fma_f64 v[139:140], v[98:99], s[16:17], -v[100:101]
	v_fma_f64 v[145:146], v[94:95], s[20:21], v[193:194]
	v_fma_f64 v[147:148], v[98:99], s[20:21], -v[197:198]
	v_fma_f64 v[149:150], v[94:95], s[28:29], v[185:186]
	s_mov_b32 s51, 0xbfe0d888
	s_mov_b32 s49, 0x3feca52d
	s_mov_b32 s50, s40
	s_mov_b32 s48, s10
	s_clause 0x1
	scratch_store_b64 off, v[88:89], off offset:12
	scratch_store_b64 off, v[90:91], off offset:28
	v_fma_f64 v[153:154], v[104:105], s[24:25], v[108:109]
	v_fma_f64 v[157:158], v[106:107], s[24:25], -v[110:111]
	v_fma_f64 v[159:160], v[104:105], s[28:29], v[203:204]
	v_add_f64_e32 v[0:1], v[12:13], v[0:1]
	v_add_f64_e32 v[2:3], v[14:15], v[2:3]
	v_add_f64_e32 v[4:5], v[12:13], v[4:5]
	v_add_f64_e32 v[6:7], v[14:15], v[6:7]
	v_add_f64_e32 v[8:9], v[12:13], v[8:9]
	v_add_f64_e32 v[10:11], v[14:15], v[10:11]
	v_add_f64_e64 v[169:170], v[72:73], -v[76:77]
	v_add_f64_e64 v[183:184], v[74:75], -v[78:79]
	v_mul_f64_e32 v[225:226], s[46:47], v[141:142]
	v_mul_f64_e32 v[223:224], s[46:47], v[171:172]
	;; [unrolled: 1-line block ×4, first 2 shown]
	s_mov_b32 s53, 0x3fd71e95
	s_mov_b32 s52, s4
	global_wb scope:SCOPE_SE
	s_wait_storecnt 0x0
	s_barrier_signal -1
	s_barrier_wait -1
	global_inv scope:SCOPE_SE
	v_mul_f64_e32 v[233:234], s[48:49], v[155:156]
	v_mul_f64_e32 v[229:230], s[48:49], v[179:180]
	;; [unrolled: 1-line block ×4, first 2 shown]
	v_add_f64_e32 v[0:1], v[112:113], v[0:1]
	v_add_f64_e32 v[2:3], v[114:115], v[2:3]
	;; [unrolled: 1-line block ×5, first 2 shown]
	v_fma_f64 v[130:131], v[98:99], s[28:29], -v[191:192]
	v_add_f64_e32 v[10:11], v[135:136], v[10:11]
	v_add_f64_e32 v[112:113], v[52:53], v[48:49]
	;; [unrolled: 1-line block ×3, first 2 shown]
	v_mul_f64_e32 v[120:121], s[38:39], v[167:168]
	v_mul_f64_e32 v[124:125], s[38:39], v[118:119]
	;; [unrolled: 1-line block ×5, first 2 shown]
	v_add_f64_e32 v[0:1], v[137:138], v[0:1]
	v_add_f64_e32 v[2:3], v[139:140], v[2:3]
	;; [unrolled: 1-line block ×3, first 2 shown]
	v_fma_f64 v[145:146], v[106:107], s[28:29], -v[205:206]
	v_add_f64_e32 v[6:7], v[147:148], v[6:7]
	v_fma_f64 v[147:148], v[104:105], s[34:35], v[195:196]
	v_add_f64_e32 v[8:9], v[149:150], v[8:9]
	v_fma_f64 v[149:150], v[106:107], s[34:35], -v[199:200]
	v_add_f64_e32 v[10:11], v[130:131], v[10:11]
	v_add_f64_e32 v[130:131], v[56:57], v[60:61]
	;; [unrolled: 1-line block ×3, first 2 shown]
	v_mul_f64_e32 v[139:140], s[22:23], v[141:142]
	v_fma_f64 v[161:162], v[112:113], s[34:35], v[120:121]
	v_fma_f64 v[165:166], v[114:115], s[34:35], -v[124:125]
	v_fma_f64 v[227:228], v[112:113], s[14:15], v[201:202]
	v_fma_f64 v[231:232], v[114:115], s[14:15], -v[207:208]
	v_add_f64_e32 v[0:1], v[153:154], v[0:1]
	v_add_f64_e32 v[2:3], v[157:158], v[2:3]
	v_fma_f64 v[157:158], v[112:113], s[36:37], v[213:214]
	v_add_f64_e32 v[4:5], v[159:160], v[4:5]
	v_fma_f64 v[159:160], v[114:115], s[36:37], -v[217:218]
	v_add_f64_e32 v[6:7], v[145:146], v[6:7]
	v_add_f64_e32 v[8:9], v[147:148], v[8:9]
	;; [unrolled: 1-line block ×5, first 2 shown]
	v_mul_f64_e32 v[149:150], s[50:51], v[179:180]
	v_mul_f64_e32 v[153:154], s[50:51], v[155:156]
	v_fma_f64 v[247:248], v[130:131], s[20:21], v[135:136]
	v_fma_f64 v[249:250], v[137:138], s[20:21], -v[139:140]
	v_fma_f64 v[251:252], v[130:131], s[34:35], v[223:224]
	v_fma_f64 v[253:254], v[137:138], s[34:35], -v[225:226]
	;; [unrolled: 2-line block ×3, first 2 shown]
	v_add_f64_e32 v[0:1], v[161:162], v[0:1]
	v_add_f64_e32 v[2:3], v[165:166], v[2:3]
	;; [unrolled: 1-line block ×7, first 2 shown]
	v_mul_f64_e32 v[159:160], s[42:43], v[183:184]
	v_add_f64_e32 v[10:11], v[231:232], v[10:11]
	v_mul_f64_e32 v[165:166], s[42:43], v[169:170]
	v_mul_f64_e32 v[227:228], s[50:51], v[183:184]
	v_fma_f64 v[90:91], v[145:146], s[36:37], v[149:150]
	v_mul_f64_e32 v[231:232], s[50:51], v[169:170]
	v_add_f64_e32 v[0:1], v[247:248], v[0:1]
	v_fma_f64 v[247:248], v[147:148], s[36:37], -v[153:154]
	v_add_f64_e32 v[2:3], v[249:250], v[2:3]
	v_fma_f64 v[249:250], v[145:146], s[16:17], v[229:230]
	v_add_f64_e32 v[4:5], v[251:252], v[4:5]
	v_fma_f64 v[251:252], v[147:148], s[16:17], -v[233:234]
	v_add_f64_e32 v[6:7], v[253:254], v[6:7]
	v_fma_f64 v[253:254], v[145:146], s[24:25], v[215:216]
	;; [unrolled: 4-line block ×5, first 2 shown]
	v_add_f64_e32 v[8:9], v[253:254], v[8:9]
	v_add_f64_e32 v[10:11], v[245:246], v[10:11]
	v_fma_f64 v[245:246], v[161:162], s[36:37], -v[231:232]
	v_add_f64_e32 v[0:1], v[88:89], v[0:1]
	v_add_f64_e32 v[2:3], v[90:91], v[2:3]
	;; [unrolled: 1-line block ×6, first 2 shown]
	s_and_saveexec_b32 s33, vcc_lo
	s_cbranch_execz .LBB0_7
; %bb.6:
	v_add_f64_e32 v[32:33], v[12:13], v[32:33]
	v_add_f64_e32 v[34:35], v[14:15], v[34:35]
	s_mov_b32 s55, 0x3fe9895b
	s_mov_b32 s54, s22
	s_mov_b32 s57, 0x3fefdd0d
	s_mov_b32 s56, s26
	s_delay_alu instid0(VALU_DEP_2) | instskip(NEXT) | instid1(VALU_DEP_2)
	v_add_f64_e32 v[32:33], v[32:33], v[36:37]
	v_add_f64_e32 v[34:35], v[34:35], v[38:39]
	v_mul_f64_e32 v[36:37], s[24:25], v[128:129]
	s_delay_alu instid0(VALU_DEP_3) | instskip(NEXT) | instid1(VALU_DEP_3)
	v_add_f64_e32 v[32:33], v[32:33], v[40:41]
	v_add_f64_e32 v[34:35], v[34:35], v[42:43]
	v_mul_f64_e32 v[42:43], s[16:17], v[116:117]
	s_delay_alu instid0(VALU_DEP_4)
	v_fma_f64 v[38:39], v[133:134], s[56:57], v[36:37]
	v_mul_f64_e32 v[40:41], s[16:17], v[128:129]
	v_fma_f64 v[36:37], v[133:134], s[26:27], v[36:37]
	v_add_f64_e32 v[32:33], v[32:33], v[44:45]
	v_add_f64_e32 v[34:35], v[34:35], v[46:47]
	v_mul_f64_e32 v[46:47], s[14:15], v[116:117]
	v_add_f64_e64 v[42:43], v[42:43], -v[221:222]
	v_mul_f64_e32 v[44:45], s[14:15], v[128:129]
	v_add_f64_e32 v[90:91], v[14:15], v[38:39]
	v_add_f64_e32 v[40:41], v[237:238], v[40:41]
	;; [unrolled: 1-line block ×4, first 2 shown]
	v_mul_f64_e32 v[52:53], s[50:51], v[126:127]
	v_mul_f64_e32 v[54:55], s[22:23], v[126:127]
	v_add_f64_e64 v[46:47], v[46:47], -v[173:174]
	v_add_f64_e32 v[38:39], v[12:13], v[42:43]
	v_add_f64_e32 v[44:45], v[175:176], v[44:45]
	v_mul_f64_e32 v[173:174], s[56:57], v[183:184]
	v_mul_f64_e32 v[175:176], s[50:51], v[171:172]
	v_add_f64_e32 v[32:33], v[32:33], v[56:57]
	v_add_f64_e32 v[34:35], v[34:35], v[58:59]
	v_mul_f64_e32 v[56:57], s[38:39], v[126:127]
	v_mul_f64_e32 v[58:59], s[26:27], v[126:127]
	s_delay_alu instid0(VALU_DEP_4) | instskip(NEXT) | instid1(VALU_DEP_4)
	v_add_f64_e32 v[32:33], v[32:33], v[64:65]
	v_add_f64_e32 v[34:35], v[34:35], v[66:67]
	v_fma_f64 v[64:65], v[116:117], s[20:21], v[54:55]
	v_fma_f64 v[54:55], v[116:117], s[20:21], -v[54:55]
	v_fma_f64 v[66:67], v[116:117], s[34:35], v[56:57]
	v_fma_f64 v[56:57], v[116:117], s[34:35], -v[56:57]
	v_add_f64_e32 v[32:33], v[32:33], v[72:73]
	v_add_f64_e32 v[34:35], v[34:35], v[74:75]
	;; [unrolled: 1-line block ×8, first 2 shown]
	s_delay_alu instid0(VALU_DEP_2) | instskip(NEXT) | instid1(VALU_DEP_2)
	v_add_f64_e32 v[32:33], v[32:33], v[68:69]
	v_add_f64_e32 v[34:35], v[34:35], v[70:71]
	v_mul_f64_e32 v[70:71], s[18:19], v[116:117]
	v_fma_f64 v[68:69], v[116:117], s[24:25], v[58:59]
	v_fma_f64 v[58:59], v[116:117], s[24:25], -v[58:59]
	v_add_f64_e32 v[32:33], v[32:33], v[60:61]
	v_add_f64_e32 v[34:35], v[34:35], v[62:63]
	v_fma_f64 v[62:63], v[116:117], s[36:37], v[52:53]
	v_fma_f64 v[52:53], v[116:117], s[36:37], -v[52:53]
	v_add_f64_e64 v[70:71], v[70:71], -v[151:152]
	v_add_f64_e32 v[68:69], v[12:13], v[68:69]
	v_add_f64_e32 v[58:59], v[12:13], v[58:59]
	;; [unrolled: 1-line block ×4, first 2 shown]
	v_mul_f64_e32 v[50:51], s[42:43], v[126:127]
	v_mul_f64_e32 v[48:49], s[18:19], v[128:129]
	v_add_f64_e32 v[62:63], v[12:13], v[62:63]
	v_add_f64_e32 v[52:53], v[12:13], v[52:53]
	;; [unrolled: 1-line block ×5, first 2 shown]
	v_mul_f64_e32 v[32:33], s[34:35], v[128:129]
	v_fma_f64 v[60:61], v[116:117], s[28:29], v[50:51]
	v_fma_f64 v[50:51], v[116:117], s[28:29], -v[50:51]
	v_add_f64_e32 v[48:49], v[163:164], v[48:49]
	v_add_f64_e32 v[116:117], v[14:15], v[36:37]
	;; [unrolled: 1-line block ×3, first 2 shown]
	v_mul_f64_e32 v[163:164], s[24:25], v[161:162]
	v_add_f64_e32 v[24:25], v[28:29], v[24:25]
	v_add_f64_e32 v[26:27], v[30:31], v[26:27]
	v_mul_f64_e32 v[28:29], s[20:21], v[128:129]
	v_fma_f64 v[34:35], v[133:134], s[46:47], v[32:33]
	v_add_f64_e32 v[60:61], v[12:13], v[60:61]
	v_add_f64_e32 v[50:51], v[12:13], v[50:51]
	v_fma_f64 v[32:33], v[133:134], s[38:39], v[32:33]
	v_add_f64_e32 v[126:127], v[14:15], v[48:49]
	v_add_f64_e32 v[20:21], v[24:25], v[20:21]
	v_mul_f64_e32 v[24:25], s[36:37], v[128:129]
	v_add_f64_e32 v[22:23], v[26:27], v[22:23]
	v_fma_f64 v[30:31], v[133:134], s[54:55], v[28:29]
	v_fma_f64 v[28:29], v[133:134], s[22:23], v[28:29]
	v_add_f64_e32 v[78:79], v[14:15], v[34:35]
	v_add_f64_e32 v[34:35], v[12:13], v[46:47]
	v_add_f64_e32 v[88:89], v[14:15], v[32:33]
	v_add_f64_e32 v[32:33], v[14:15], v[44:45]
	v_add_f64_e32 v[16:17], v[20:21], v[16:17]
	v_mul_f64_e32 v[20:21], s[28:29], v[128:129]
	v_fma_f64 v[26:27], v[133:134], s[40:41], v[24:25]
	v_fma_f64 v[24:25], v[133:134], s[50:51], v[24:25]
	v_add_f64_e32 v[18:19], v[22:23], v[18:19]
	v_add_f64_e32 v[76:77], v[14:15], v[28:29]
	v_mul_f64_e32 v[28:29], s[36:37], v[98:99]
	v_add_f64_e32 v[74:75], v[14:15], v[30:31]
	v_fma_f64 v[22:23], v[133:134], s[30:31], v[20:21]
	v_fma_f64 v[20:21], v[133:134], s[42:43], v[20:21]
	v_add_f64_e32 v[72:73], v[14:15], v[24:25]
	v_mul_f64_e32 v[24:25], s[18:19], v[86:87]
	v_add_f64_e32 v[26:27], v[14:15], v[26:27]
	v_fma_f64 v[30:31], v[92:93], s[40:41], v[28:29]
	v_add_f64_e32 v[22:23], v[14:15], v[22:23]
	v_add_f64_e32 v[20:21], v[14:15], v[20:21]
	v_fma_f64 v[12:13], v[80:81], s[4:5], v[24:25]
	v_fma_f64 v[24:25], v[80:81], s[52:53], v[24:25]
	s_delay_alu instid0(VALU_DEP_2) | instskip(SKIP_1) | instid1(VALU_DEP_3)
	v_add_f64_e32 v[12:13], v[12:13], v[22:23]
	v_mul_f64_e32 v[22:23], s[52:53], v[82:83]
	v_add_f64_e32 v[20:21], v[24:25], v[20:21]
	v_fma_f64 v[24:25], v[92:93], s[50:51], v[28:29]
	v_fma_f64 v[28:29], v[157:158], s[24:25], -v[173:174]
	v_add_f64_e32 v[12:13], v[30:31], v[12:13]
	v_fma_f64 v[14:15], v[84:85], s[18:19], v[22:23]
	v_mul_f64_e32 v[30:31], s[50:51], v[122:123]
	v_fma_f64 v[22:23], v[84:85], s[18:19], -v[22:23]
	v_add_f64_e32 v[20:21], v[24:25], v[20:21]
	s_delay_alu instid0(VALU_DEP_4) | instskip(NEXT) | instid1(VALU_DEP_4)
	v_add_f64_e32 v[14:15], v[14:15], v[60:61]
	v_fma_f64 v[40:41], v[94:95], s[36:37], v[30:31]
	s_delay_alu instid0(VALU_DEP_4) | instskip(SKIP_2) | instid1(VALU_DEP_4)
	v_add_f64_e32 v[22:23], v[22:23], v[50:51]
	v_fma_f64 v[24:25], v[94:95], s[36:37], -v[30:31]
	v_mul_f64_e32 v[30:31], s[48:49], v[82:83]
	v_add_f64_e32 v[14:15], v[40:41], v[14:15]
	v_mul_f64_e32 v[40:41], s[14:15], v[106:107]
	s_delay_alu instid0(VALU_DEP_4) | instskip(NEXT) | instid1(VALU_DEP_2)
	v_add_f64_e32 v[22:23], v[24:25], v[22:23]
	v_fma_f64 v[42:43], v[102:103], s[6:7], v[40:41]
	v_fma_f64 v[24:25], v[102:103], s[44:45], v[40:41]
	v_mul_f64_e32 v[40:41], s[24:25], v[98:99]
	s_delay_alu instid0(VALU_DEP_3) | instskip(SKIP_1) | instid1(VALU_DEP_4)
	v_add_f64_e32 v[12:13], v[42:43], v[12:13]
	v_mul_f64_e32 v[42:43], s[44:45], v[143:144]
	v_add_f64_e32 v[20:21], v[24:25], v[20:21]
	s_delay_alu instid0(VALU_DEP_2) | instskip(SKIP_3) | instid1(VALU_DEP_4)
	v_fma_f64 v[44:45], v[104:105], s[14:15], v[42:43]
	v_fma_f64 v[24:25], v[104:105], s[14:15], -v[42:43]
	v_fma_f64 v[42:43], v[92:93], s[56:57], v[40:41]
	v_fma_f64 v[40:41], v[92:93], s[26:27], v[40:41]
	v_add_f64_e32 v[14:15], v[44:45], v[14:15]
	v_mul_f64_e32 v[44:45], s[20:21], v[114:115]
	v_add_f64_e32 v[22:23], v[24:25], v[22:23]
	s_delay_alu instid0(VALU_DEP_2) | instskip(SKIP_1) | instid1(VALU_DEP_2)
	v_fma_f64 v[46:47], v[118:119], s[54:55], v[44:45]
	v_fma_f64 v[24:25], v[118:119], s[22:23], v[44:45]
	v_add_f64_e32 v[12:13], v[46:47], v[12:13]
	v_mul_f64_e32 v[46:47], s[22:23], v[167:168]
	s_delay_alu instid0(VALU_DEP_3) | instskip(NEXT) | instid1(VALU_DEP_2)
	v_add_f64_e32 v[20:21], v[24:25], v[20:21]
	v_fma_f64 v[48:49], v[112:113], s[20:21], v[46:47]
	v_fma_f64 v[24:25], v[112:113], s[20:21], -v[46:47]
	s_delay_alu instid0(VALU_DEP_2) | instskip(SKIP_1) | instid1(VALU_DEP_3)
	v_add_f64_e32 v[14:15], v[48:49], v[14:15]
	v_mul_f64_e32 v[48:49], s[16:17], v[137:138]
	v_add_f64_e32 v[22:23], v[24:25], v[22:23]
	s_delay_alu instid0(VALU_DEP_2) | instskip(SKIP_1) | instid1(VALU_DEP_2)
	v_fma_f64 v[60:61], v[141:142], s[10:11], v[48:49]
	v_fma_f64 v[24:25], v[141:142], s[48:49], v[48:49]
	v_add_f64_e32 v[12:13], v[60:61], v[12:13]
	v_mul_f64_e32 v[60:61], s[48:49], v[171:172]
	s_delay_alu instid0(VALU_DEP_3) | instskip(NEXT) | instid1(VALU_DEP_2)
	v_add_f64_e32 v[20:21], v[24:25], v[20:21]
	v_fma_f64 v[128:129], v[130:131], s[16:17], v[60:61]
	v_fma_f64 v[24:25], v[130:131], s[16:17], -v[60:61]
	s_delay_alu instid0(VALU_DEP_2) | instskip(SKIP_1) | instid1(VALU_DEP_3)
	v_add_f64_e32 v[14:15], v[128:129], v[14:15]
	v_mul_f64_e32 v[128:129], s[34:35], v[147:148]
	v_add_f64_e32 v[22:23], v[24:25], v[22:23]
	s_delay_alu instid0(VALU_DEP_2) | instskip(SKIP_1) | instid1(VALU_DEP_2)
	v_fma_f64 v[133:134], v[155:156], s[46:47], v[128:129]
	v_fma_f64 v[24:25], v[155:156], s[38:39], v[128:129]
	v_add_f64_e32 v[12:13], v[133:134], v[12:13]
	v_mul_f64_e32 v[133:134], s[38:39], v[179:180]
	s_delay_alu instid0(VALU_DEP_3) | instskip(NEXT) | instid1(VALU_DEP_2)
	v_add_f64_e32 v[20:21], v[24:25], v[20:21]
	v_fma_f64 v[24:25], v[145:146], s[34:35], -v[133:134]
	v_fma_f64 v[151:152], v[145:146], s[34:35], v[133:134]
	s_delay_alu instid0(VALU_DEP_2) | instskip(SKIP_1) | instid1(VALU_DEP_3)
	v_add_f64_e32 v[24:25], v[24:25], v[22:23]
	v_fma_f64 v[22:23], v[169:170], s[56:57], v[163:164]
	v_add_f64_e32 v[151:152], v[151:152], v[14:15]
	v_fma_f64 v[14:15], v[169:170], s[26:27], v[163:164]
	v_mul_f64_e32 v[163:164], s[34:35], v[161:162]
	s_delay_alu instid0(VALU_DEP_4)
	v_add_f64_e32 v[22:23], v[22:23], v[20:21]
	v_add_f64_e32 v[20:21], v[28:29], v[24:25]
	v_mul_f64_e32 v[28:29], s[16:17], v[86:87]
	v_add_f64_e32 v[14:15], v[14:15], v[12:13]
	v_fma_f64 v[12:13], v[157:158], s[24:25], v[173:174]
	v_mul_f64_e32 v[173:174], s[38:39], v[183:184]
	s_delay_alu instid0(VALU_DEP_4) | instskip(SKIP_1) | instid1(VALU_DEP_4)
	v_fma_f64 v[24:25], v[80:81], s[10:11], v[28:29]
	v_fma_f64 v[28:29], v[80:81], s[48:49], v[28:29]
	v_add_f64_e32 v[12:13], v[12:13], v[151:152]
	s_delay_alu instid0(VALU_DEP_3) | instskip(SKIP_1) | instid1(VALU_DEP_4)
	v_add_f64_e32 v[24:25], v[24:25], v[26:27]
	v_fma_f64 v[26:27], v[84:85], s[16:17], v[30:31]
	v_add_f64_e32 v[28:29], v[28:29], v[72:73]
	v_fma_f64 v[30:31], v[84:85], s[16:17], -v[30:31]
	v_mul_f64_e32 v[72:73], s[34:35], v[98:99]
	v_add_f64_e32 v[24:25], v[42:43], v[24:25]
	v_mul_f64_e32 v[42:43], s[26:27], v[122:123]
	v_add_f64_e32 v[26:27], v[26:27], v[62:63]
	v_add_f64_e32 v[30:31], v[30:31], v[52:53]
	;; [unrolled: 1-line block ×3, first 2 shown]
	v_mul_f64_e32 v[52:53], s[24:25], v[84:85]
	v_fma_f64 v[44:45], v[94:95], s[24:25], v[42:43]
	v_fma_f64 v[40:41], v[94:95], s[24:25], -v[42:43]
	v_fma_f64 v[42:43], v[157:158], s[34:35], -v[173:174]
	s_delay_alu instid0(VALU_DEP_4)
	v_add_f64_e64 v[52:53], v[52:53], -v[187:188]
	v_mul_f64_e32 v[187:188], s[44:45], v[183:184]
	v_add_f64_e32 v[26:27], v[44:45], v[26:27]
	v_mul_f64_e32 v[44:45], s[20:21], v[106:107]
	v_add_f64_e32 v[30:31], v[40:41], v[30:31]
	v_add_f64_e32 v[34:35], v[52:53], v[34:35]
	v_mul_f64_e32 v[52:53], s[28:29], v[94:95]
	s_delay_alu instid0(VALU_DEP_4) | instskip(SKIP_2) | instid1(VALU_DEP_4)
	v_fma_f64 v[46:47], v[102:103], s[22:23], v[44:45]
	v_fma_f64 v[40:41], v[102:103], s[54:55], v[44:45]
	v_mul_f64_e32 v[44:45], s[20:21], v[98:99]
	v_add_f64_e64 v[52:53], v[52:53], -v[185:186]
	v_mul_f64_e32 v[185:186], s[14:15], v[161:162]
	v_add_f64_e32 v[24:25], v[46:47], v[24:25]
	v_mul_f64_e32 v[46:47], s[54:55], v[143:144]
	v_add_f64_e32 v[28:29], v[40:41], v[28:29]
	v_add_f64_e32 v[44:45], v[197:198], v[44:45]
	v_mul_f64_e32 v[197:198], s[42:43], v[167:168]
	s_delay_alu instid0(VALU_DEP_4) | instskip(SKIP_2) | instid1(VALU_DEP_3)
	v_fma_f64 v[48:49], v[104:105], s[20:21], v[46:47]
	v_fma_f64 v[40:41], v[104:105], s[20:21], -v[46:47]
	v_mul_f64_e32 v[46:47], s[24:25], v[86:87]
	v_add_f64_e32 v[26:27], v[48:49], v[26:27]
	v_mul_f64_e32 v[48:49], s[18:19], v[114:115]
	s_delay_alu instid0(VALU_DEP_4) | instskip(NEXT) | instid1(VALU_DEP_4)
	v_add_f64_e32 v[30:31], v[40:41], v[30:31]
	v_add_f64_e32 v[46:47], v[189:190], v[46:47]
	v_mul_f64_e32 v[189:190], s[44:45], v[122:123]
	s_delay_alu instid0(VALU_DEP_4)
	v_fma_f64 v[50:51], v[118:119], s[52:53], v[48:49]
	v_fma_f64 v[40:41], v[118:119], s[4:5], v[48:49]
	v_mul_f64_e32 v[48:49], s[28:29], v[104:105]
	v_add_f64_e32 v[32:33], v[46:47], v[32:33]
	v_mul_f64_e32 v[46:47], s[34:35], v[130:131]
	v_add_f64_e32 v[24:25], v[50:51], v[24:25]
	;; [unrolled: 2-line block ×3, first 2 shown]
	v_add_f64_e64 v[48:49], v[48:49], -v[203:204]
	v_add_f64_e32 v[32:33], v[44:45], v[32:33]
	v_add_f64_e64 v[46:47], v[46:47], -v[223:224]
	v_mul_f64_e32 v[44:45], s[16:17], v[147:148]
	v_mul_f64_e32 v[203:204], s[18:19], v[147:148]
	v_fma_f64 v[60:61], v[112:113], s[18:19], v[50:51]
	v_fma_f64 v[40:41], v[112:113], s[18:19], -v[50:51]
	v_mul_f64_e32 v[50:51], s[20:21], v[94:95]
	v_add_f64_e32 v[44:45], v[233:234], v[44:45]
	s_delay_alu instid0(VALU_DEP_4) | instskip(SKIP_4) | instid1(VALU_DEP_4)
	v_add_f64_e32 v[26:27], v[60:61], v[26:27]
	v_mul_f64_e32 v[60:61], s[28:29], v[137:138]
	v_add_f64_e32 v[30:31], v[40:41], v[30:31]
	v_add_f64_e64 v[50:51], v[50:51], -v[193:194]
	v_mul_f64_e32 v[193:194], s[10:11], v[143:144]
	v_fma_f64 v[62:63], v[141:142], s[30:31], v[60:61]
	v_fma_f64 v[40:41], v[141:142], s[42:43], v[60:61]
	v_mul_f64_e32 v[60:61], s[36:37], v[112:113]
	v_add_f64_e32 v[34:35], v[50:51], v[34:35]
	v_mul_f64_e32 v[50:51], s[34:35], v[104:105]
	v_add_f64_e32 v[24:25], v[62:63], v[24:25]
	v_mul_f64_e32 v[62:63], s[42:43], v[171:172]
	v_add_f64_e32 v[28:29], v[40:41], v[28:29]
	v_add_f64_e64 v[60:61], v[60:61], -v[213:214]
	v_add_f64_e32 v[34:35], v[48:49], v[34:35]
	v_mul_f64_e32 v[48:49], s[14:15], v[112:113]
	v_add_f64_e64 v[50:51], v[50:51], -v[195:196]
	v_mul_f64_e32 v[195:196], s[28:29], v[114:115]
	v_fma_f64 v[128:129], v[130:131], s[28:29], v[62:63]
	v_fma_f64 v[40:41], v[130:131], s[28:29], -v[62:63]
	v_mul_f64_e32 v[62:63], s[34:35], v[137:138]
	v_add_f64_e32 v[34:35], v[60:61], v[34:35]
	v_mul_f64_e32 v[60:61], s[20:21], v[84:85]
	v_add_f64_e64 v[48:49], v[48:49], -v[201:202]
	v_mul_f64_e32 v[201:202], s[56:57], v[171:172]
	v_mul_f64_e32 v[171:172], s[6:7], v[171:172]
	v_add_f64_e32 v[26:27], v[128:129], v[26:27]
	v_mul_f64_e32 v[128:129], s[14:15], v[147:148]
	v_add_f64_e32 v[30:31], v[40:41], v[30:31]
	v_add_f64_e32 v[62:63], v[225:226], v[62:63]
	;; [unrolled: 1-line block ×3, first 2 shown]
	v_mul_f64_e32 v[46:47], s[18:19], v[157:158]
	v_add_f64_e64 v[60:61], v[60:61], -v[177:178]
	v_mul_f64_e32 v[177:178], s[20:21], v[147:148]
	v_fma_f64 v[133:134], v[155:156], s[6:7], v[128:129]
	v_fma_f64 v[40:41], v[155:156], s[44:45], v[128:129]
	v_mul_f64_e32 v[128:129], s[18:19], v[106:107]
	v_add_f64_e64 v[46:47], v[46:47], -v[235:236]
	v_add_f64_e32 v[38:39], v[60:61], v[38:39]
	v_mul_f64_e32 v[60:61], s[28:29], v[86:87]
	v_add_f64_e32 v[24:25], v[133:134], v[24:25]
	v_mul_f64_e32 v[133:134], s[44:45], v[179:180]
	v_add_f64_e32 v[28:29], v[40:41], v[28:29]
	v_add_f64_e32 v[38:39], v[52:53], v[38:39]
	v_mul_f64_e32 v[52:53], s[34:35], v[86:87]
	s_delay_alu instid0(VALU_DEP_4)
	v_fma_f64 v[40:41], v[145:146], s[14:15], -v[133:134]
	v_fma_f64 v[151:152], v[145:146], s[14:15], v[133:134]
	v_mul_f64_e32 v[133:134], s[52:53], v[143:144]
	v_mul_f64_e32 v[143:144], s[50:51], v[143:144]
	v_add_f64_e32 v[38:39], v[50:51], v[38:39]
	v_add_f64_e32 v[40:41], v[40:41], v[30:31]
	v_fma_f64 v[30:31], v[169:170], s[38:39], v[163:164]
	v_add_f64_e32 v[151:152], v[151:152], v[26:27]
	v_fma_f64 v[26:27], v[169:170], s[46:47], v[163:164]
	v_add_f64_e32 v[38:39], v[48:49], v[38:39]
	v_mul_f64_e32 v[163:164], s[10:11], v[167:168]
	v_mul_f64_e32 v[167:168], s[56:57], v[167:168]
	v_add_f64_e32 v[30:31], v[30:31], v[28:29]
	v_add_f64_e32 v[28:29], v[42:43], v[40:41]
	v_mul_f64_e32 v[42:43], s[28:29], v[106:107]
	v_mul_f64_e32 v[40:41], s[36:37], v[114:115]
	v_add_f64_e32 v[26:27], v[26:27], v[24:25]
	v_fma_f64 v[24:25], v[157:158], s[34:35], v[173:174]
	v_mul_f64_e32 v[173:174], s[36:37], v[137:138]
	v_add_f64_e32 v[42:43], v[205:206], v[42:43]
	v_add_f64_e32 v[40:41], v[217:218], v[40:41]
	v_mul_f64_e32 v[205:206], s[4:5], v[179:180]
	v_add_f64_e32 v[24:25], v[24:25], v[151:152]
	v_mul_f64_e32 v[151:152], s[16:17], v[114:115]
	;; [unrolled: 2-line block ×3, first 2 shown]
	s_delay_alu instid0(VALU_DEP_2) | instskip(NEXT) | instid1(VALU_DEP_2)
	v_add_f64_e32 v[32:33], v[40:41], v[32:33]
	v_add_f64_e64 v[42:43], v[42:43], -v[229:230]
	v_mul_f64_e32 v[40:41], s[18:19], v[161:162]
	s_delay_alu instid0(VALU_DEP_3) | instskip(NEXT) | instid1(VALU_DEP_3)
	v_add_f64_e32 v[32:33], v[62:63], v[32:33]
	v_add_f64_e32 v[42:43], v[42:43], v[34:35]
	s_delay_alu instid0(VALU_DEP_3) | instskip(SKIP_1) | instid1(VALU_DEP_4)
	v_add_f64_e32 v[40:41], v[239:240], v[40:41]
	v_mul_f64_e32 v[62:63], s[18:19], v[137:138]
	v_add_f64_e32 v[32:33], v[44:45], v[32:33]
	v_mul_f64_e32 v[44:45], s[28:29], v[98:99]
	s_delay_alu instid0(VALU_DEP_3) | instskip(NEXT) | instid1(VALU_DEP_3)
	v_add_f64_e32 v[62:63], v[211:212], v[62:63]
	v_add_f64_e32 v[34:35], v[40:41], v[32:33]
	;; [unrolled: 1-line block ×3, first 2 shown]
	v_mul_f64_e32 v[46:47], s[20:21], v[86:87]
	v_mul_f64_e32 v[42:43], s[34:35], v[106:107]
	v_add_f64_e32 v[44:45], v[191:192], v[44:45]
	v_mul_f64_e32 v[40:41], s[14:15], v[114:115]
	v_mul_f64_e32 v[191:192], s[16:17], v[106:107]
	v_add_f64_e32 v[46:47], v[181:182], v[46:47]
	v_add_f64_e32 v[42:43], v[199:200], v[42:43]
	v_mul_f64_e32 v[181:182], s[54:55], v[179:180]
	v_add_f64_e32 v[40:41], v[207:208], v[40:41]
	v_mul_f64_e32 v[199:200], s[24:25], v[137:138]
	v_mul_f64_e32 v[207:208], s[20:21], v[161:162]
	;; [unrolled: 1-line block ×3, first 2 shown]
	v_add_f64_e32 v[36:37], v[46:47], v[36:37]
	v_mul_f64_e32 v[46:47], s[18:19], v[130:131]
	s_delay_alu instid0(VALU_DEP_2) | instskip(SKIP_1) | instid1(VALU_DEP_3)
	v_add_f64_e32 v[36:37], v[44:45], v[36:37]
	v_mul_f64_e32 v[44:45], s[24:25], v[147:148]
	v_add_f64_e64 v[46:47], v[46:47], -v[209:210]
	v_mul_f64_e32 v[209:210], s[22:23], v[183:184]
	v_mul_f64_e32 v[183:184], s[48:49], v[183:184]
	v_add_f64_e32 v[36:37], v[42:43], v[36:37]
	v_add_f64_e32 v[44:45], v[219:220], v[44:45]
	v_mul_f64_e32 v[42:43], s[24:25], v[145:146]
	v_add_f64_e32 v[38:39], v[46:47], v[38:39]
	v_mul_f64_e32 v[46:47], s[36:37], v[157:158]
	v_mul_f64_e32 v[219:220], s[16:17], v[161:162]
	v_add_f64_e32 v[36:37], v[40:41], v[36:37]
	v_mul_f64_e32 v[40:41], s[36:37], v[161:162]
	v_add_f64_e64 v[42:43], v[42:43], -v[215:216]
	v_add_f64_e64 v[46:47], v[46:47], -v[227:228]
	s_delay_alu instid0(VALU_DEP_4) | instskip(NEXT) | instid1(VALU_DEP_4)
	v_add_f64_e32 v[36:37], v[62:63], v[36:37]
	v_add_f64_e32 v[40:41], v[231:232], v[40:41]
	s_delay_alu instid0(VALU_DEP_4) | instskip(SKIP_1) | instid1(VALU_DEP_4)
	v_add_f64_e32 v[42:43], v[42:43], v[38:39]
	v_mul_f64_e32 v[62:63], s[42:43], v[82:83]
	v_add_f64_e32 v[36:37], v[44:45], v[36:37]
	v_fma_f64 v[44:45], v[92:93], s[46:47], v[72:73]
	v_fma_f64 v[72:73], v[92:93], s[38:39], v[72:73]
	s_delay_alu instid0(VALU_DEP_3)
	v_add_f64_e32 v[38:39], v[40:41], v[36:37]
	v_fma_f64 v[40:41], v[80:81], s[42:43], v[60:61]
	v_add_f64_e32 v[36:37], v[46:47], v[42:43]
	v_fma_f64 v[42:43], v[84:85], s[28:29], -v[62:63]
	v_fma_f64 v[60:61], v[80:81], s[30:31], v[60:61]
	v_fma_f64 v[62:63], v[84:85], s[28:29], v[62:63]
	v_add_f64_e32 v[40:41], v[40:41], v[116:117]
	v_mul_f64_e32 v[116:117], s[46:47], v[122:123]
	v_add_f64_e32 v[42:43], v[42:43], v[58:59]
	v_mul_f64_e32 v[58:59], s[36:37], v[86:87]
	v_add_f64_e32 v[60:61], v[60:61], v[90:91]
	v_add_f64_e32 v[62:63], v[62:63], v[68:69]
	;; [unrolled: 1-line block ×3, first 2 shown]
	v_fma_f64 v[44:45], v[94:95], s[34:35], -v[116:117]
	v_fma_f64 v[68:69], v[94:95], s[34:35], v[116:117]
	v_add_f64_e32 v[60:61], v[72:73], v[60:61]
	scratch_load_b64 v[72:73], off, off offset:28 th:TH_LOAD_LU ; 8-byte Folded Reload
	v_add_f64_e32 v[42:43], v[44:45], v[42:43]
	v_fma_f64 v[44:45], v[102:103], s[52:53], v[128:129]
	v_add_f64_e32 v[62:63], v[68:69], v[62:63]
	v_mul_f64_e32 v[68:69], s[14:15], v[86:87]
	s_delay_alu instid0(VALU_DEP_3) | instskip(SKIP_1) | instid1(VALU_DEP_1)
	v_add_f64_e32 v[40:41], v[44:45], v[40:41]
	v_fma_f64 v[44:45], v[104:105], s[18:19], -v[133:134]
	v_add_f64_e32 v[42:43], v[44:45], v[42:43]
	v_fma_f64 v[44:45], v[118:119], s[10:11], v[151:152]
	s_delay_alu instid0(VALU_DEP_1) | instskip(SKIP_1) | instid1(VALU_DEP_1)
	v_add_f64_e32 v[40:41], v[44:45], v[40:41]
	v_fma_f64 v[44:45], v[112:113], s[16:17], -v[163:164]
	v_add_f64_e32 v[42:43], v[44:45], v[42:43]
	v_fma_f64 v[44:45], v[141:142], s[50:51], v[173:174]
	s_delay_alu instid0(VALU_DEP_1) | instskip(SKIP_1) | instid1(VALU_DEP_1)
	;; [unrolled: 5-line block ×4, first 2 shown]
	v_add_f64_e32 v[42:43], v[42:43], v[40:41]
	v_fma_f64 v[40:41], v[157:158], s[14:15], -v[187:188]
	v_add_f64_e32 v[40:41], v[40:41], v[44:45]
	v_fma_f64 v[44:45], v[80:81], s[40:41], v[58:59]
	v_fma_f64 v[58:59], v[80:81], s[50:51], v[58:59]
	s_delay_alu instid0(VALU_DEP_2) | instskip(SKIP_1) | instid1(VALU_DEP_3)
	v_add_f64_e32 v[44:45], v[44:45], v[88:89]
	v_mul_f64_e32 v[88:89], s[40:41], v[82:83]
	v_add_f64_e32 v[58:59], v[58:59], v[78:79]
	v_fma_f64 v[78:79], v[169:170], s[6:7], v[185:186]
	s_delay_alu instid0(VALU_DEP_3) | instskip(NEXT) | instid1(VALU_DEP_1)
	v_fma_f64 v[46:47], v[84:85], s[36:37], -v[88:89]
	v_add_f64_e32 v[46:47], v[46:47], v[56:57]
	v_mul_f64_e32 v[56:57], s[14:15], v[98:99]
	s_delay_alu instid0(VALU_DEP_1) | instskip(SKIP_1) | instid1(VALU_DEP_2)
	v_fma_f64 v[48:49], v[92:93], s[44:45], v[56:57]
	v_fma_f64 v[56:57], v[92:93], s[6:7], v[56:57]
	v_add_f64_e32 v[44:45], v[48:49], v[44:45]
	v_fma_f64 v[48:49], v[94:95], s[14:15], -v[189:190]
	s_delay_alu instid0(VALU_DEP_3) | instskip(SKIP_1) | instid1(VALU_DEP_3)
	v_add_f64_e32 v[56:57], v[56:57], v[58:59]
	v_fma_f64 v[58:59], v[94:95], s[14:15], v[189:190]
	v_add_f64_e32 v[46:47], v[48:49], v[46:47]
	v_fma_f64 v[48:49], v[102:103], s[10:11], v[191:192]
	s_delay_alu instid0(VALU_DEP_1) | instskip(SKIP_1) | instid1(VALU_DEP_1)
	v_add_f64_e32 v[44:45], v[48:49], v[44:45]
	v_fma_f64 v[48:49], v[104:105], s[16:17], -v[193:194]
	v_add_f64_e32 v[46:47], v[48:49], v[46:47]
	v_fma_f64 v[48:49], v[118:119], s[42:43], v[195:196]
	s_delay_alu instid0(VALU_DEP_1) | instskip(SKIP_1) | instid1(VALU_DEP_1)
	v_add_f64_e32 v[44:45], v[48:49], v[44:45]
	v_fma_f64 v[48:49], v[112:113], s[28:29], -v[197:198]
	;; [unrolled: 5-line block ×5, first 2 shown]
	v_add_f64_e32 v[44:45], v[44:45], v[48:49]
	v_fma_f64 v[48:49], v[80:81], s[46:47], v[52:53]
	v_fma_f64 v[52:53], v[80:81], s[38:39], v[52:53]
	v_mul_f64_e32 v[80:81], s[34:35], v[112:113]
	s_delay_alu instid0(VALU_DEP_3) | instskip(SKIP_1) | instid1(VALU_DEP_4)
	v_add_f64_e32 v[48:49], v[48:49], v[76:77]
	v_mul_f64_e32 v[76:77], s[46:47], v[82:83]
	v_add_f64_e32 v[52:53], v[52:53], v[74:75]
	s_delay_alu instid0(VALU_DEP_4) | instskip(NEXT) | instid1(VALU_DEP_3)
	v_add_f64_e64 v[80:81], v[80:81], -v[120:121]
	v_fma_f64 v[50:51], v[84:85], s[34:35], -v[76:77]
	v_fma_f64 v[74:75], v[84:85], s[34:35], v[76:77]
	v_fma_f64 v[76:77], v[155:156], s[22:23], v[177:178]
	s_delay_alu instid0(VALU_DEP_3) | instskip(SKIP_1) | instid1(VALU_DEP_4)
	v_add_f64_e32 v[50:51], v[50:51], v[54:55]
	v_mul_f64_e32 v[54:55], s[18:19], v[98:99]
	v_add_f64_e32 v[64:65], v[74:75], v[64:65]
	v_fma_f64 v[74:75], v[157:158], s[16:17], v[183:184]
	s_delay_alu instid0(VALU_DEP_3) | instskip(SKIP_1) | instid1(VALU_DEP_2)
	v_fma_f64 v[82:83], v[92:93], s[4:5], v[54:55]
	v_fma_f64 v[54:55], v[92:93], s[52:53], v[54:55]
	v_add_f64_e32 v[48:49], v[82:83], v[48:49]
	v_mul_f64_e32 v[82:83], s[4:5], v[122:123]
	s_delay_alu instid0(VALU_DEP_3) | instskip(NEXT) | instid1(VALU_DEP_2)
	v_add_f64_e32 v[52:53], v[54:55], v[52:53]
	v_fma_f64 v[122:123], v[94:95], s[18:19], -v[82:83]
	v_fma_f64 v[54:55], v[94:95], s[18:19], v[82:83]
	s_delay_alu instid0(VALU_DEP_2) | instskip(SKIP_1) | instid1(VALU_DEP_3)
	v_add_f64_e32 v[50:51], v[122:123], v[50:51]
	v_mul_f64_e32 v[122:123], s[36:37], v[106:107]
	v_add_f64_e32 v[54:55], v[54:55], v[64:65]
	s_delay_alu instid0(VALU_DEP_2) | instskip(SKIP_1) | instid1(VALU_DEP_2)
	v_fma_f64 v[211:212], v[102:103], s[50:51], v[122:123]
	v_fma_f64 v[64:65], v[102:103], s[40:41], v[122:123]
	v_add_f64_e32 v[48:49], v[211:212], v[48:49]
	v_fma_f64 v[211:212], v[104:105], s[36:37], -v[143:144]
	s_delay_alu instid0(VALU_DEP_3) | instskip(SKIP_1) | instid1(VALU_DEP_3)
	v_add_f64_e32 v[52:53], v[64:65], v[52:53]
	v_fma_f64 v[64:65], v[104:105], s[36:37], v[143:144]
	v_add_f64_e32 v[50:51], v[211:212], v[50:51]
	v_mul_f64_e32 v[211:212], s[24:25], v[114:115]
	s_delay_alu instid0(VALU_DEP_3) | instskip(NEXT) | instid1(VALU_DEP_2)
	v_add_f64_e32 v[54:55], v[64:65], v[54:55]
	v_fma_f64 v[213:214], v[118:119], s[56:57], v[211:212]
	v_fma_f64 v[64:65], v[118:119], s[26:27], v[211:212]
	s_delay_alu instid0(VALU_DEP_2) | instskip(SKIP_1) | instid1(VALU_DEP_3)
	v_add_f64_e32 v[48:49], v[213:214], v[48:49]
	v_fma_f64 v[213:214], v[112:113], s[24:25], -v[167:168]
	v_add_f64_e32 v[52:53], v[64:65], v[52:53]
	v_fma_f64 v[64:65], v[112:113], s[24:25], v[167:168]
	s_delay_alu instid0(VALU_DEP_3) | instskip(SKIP_1) | instid1(VALU_DEP_3)
	v_add_f64_e32 v[50:51], v[213:214], v[50:51]
	v_mul_f64_e32 v[213:214], s[14:15], v[137:138]
	v_add_f64_e32 v[54:55], v[64:65], v[54:55]
	s_delay_alu instid0(VALU_DEP_2) | instskip(SKIP_1) | instid1(VALU_DEP_2)
	v_fma_f64 v[215:216], v[141:142], s[6:7], v[213:214]
	v_fma_f64 v[64:65], v[141:142], s[44:45], v[213:214]
	v_add_f64_e32 v[48:49], v[215:216], v[48:49]
	v_fma_f64 v[215:216], v[130:131], s[14:15], -v[171:172]
	s_delay_alu instid0(VALU_DEP_3) | instskip(SKIP_1) | instid1(VALU_DEP_3)
	v_add_f64_e32 v[52:53], v[64:65], v[52:53]
	v_fma_f64 v[64:65], v[130:131], s[14:15], v[171:172]
	v_add_f64_e32 v[50:51], v[215:216], v[50:51]
	v_mul_f64_e32 v[215:216], s[28:29], v[147:148]
	s_delay_alu instid0(VALU_DEP_3) | instskip(NEXT) | instid1(VALU_DEP_2)
	v_add_f64_e32 v[54:55], v[64:65], v[54:55]
	v_fma_f64 v[64:65], v[155:156], s[30:31], v[215:216]
	v_fma_f64 v[217:218], v[155:156], s[42:43], v[215:216]
	s_delay_alu instid0(VALU_DEP_2) | instskip(SKIP_1) | instid1(VALU_DEP_3)
	v_add_f64_e32 v[52:53], v[64:65], v[52:53]
	v_fma_f64 v[64:65], v[145:146], s[28:29], v[179:180]
	v_add_f64_e32 v[48:49], v[217:218], v[48:49]
	v_fma_f64 v[217:218], v[145:146], s[28:29], -v[179:180]
	s_delay_alu instid0(VALU_DEP_3) | instskip(SKIP_1) | instid1(VALU_DEP_3)
	v_add_f64_e32 v[64:65], v[64:65], v[54:55]
	v_fma_f64 v[54:55], v[169:170], s[10:11], v[219:220]
	v_add_f64_e32 v[217:218], v[217:218], v[50:51]
	v_fma_f64 v[50:51], v[169:170], s[48:49], v[219:220]
	s_delay_alu instid0(VALU_DEP_3)
	v_add_f64_e32 v[54:55], v[54:55], v[52:53]
	v_add_f64_e32 v[52:53], v[74:75], v[64:65]
	v_fma_f64 v[64:65], v[84:85], s[36:37], v[88:89]
	v_fma_f64 v[74:75], v[141:142], s[40:41], v[173:174]
	v_add_f64_e32 v[50:51], v[50:51], v[48:49]
	v_fma_f64 v[48:49], v[157:158], s[16:17], -v[183:184]
	s_delay_alu instid0(VALU_DEP_4) | instskip(SKIP_1) | instid1(VALU_DEP_3)
	v_add_f64_e32 v[64:65], v[64:65], v[66:67]
	v_fma_f64 v[66:67], v[157:158], s[20:21], v[209:210]
	v_add_f64_e32 v[48:49], v[48:49], v[217:218]
	s_delay_alu instid0(VALU_DEP_3) | instskip(SKIP_1) | instid1(VALU_DEP_1)
	v_add_f64_e32 v[58:59], v[58:59], v[64:65]
	v_fma_f64 v[64:65], v[102:103], s[48:49], v[191:192]
	v_add_f64_e32 v[56:57], v[64:65], v[56:57]
	v_fma_f64 v[64:65], v[104:105], s[16:17], v[193:194]
	s_delay_alu instid0(VALU_DEP_1) | instskip(SKIP_1) | instid1(VALU_DEP_1)
	v_add_f64_e32 v[58:59], v[64:65], v[58:59]
	v_fma_f64 v[64:65], v[118:119], s[30:31], v[195:196]
	v_add_f64_e32 v[56:57], v[64:65], v[56:57]
	v_fma_f64 v[64:65], v[112:113], s[28:29], v[197:198]
	s_delay_alu instid0(VALU_DEP_1) | instskip(SKIP_1) | instid1(VALU_DEP_1)
	;; [unrolled: 5-line block ×4, first 2 shown]
	v_add_f64_e32 v[64:65], v[64:65], v[58:59]
	v_fma_f64 v[58:59], v[169:170], s[54:55], v[207:208]
	v_add_f64_e32 v[58:59], v[58:59], v[56:57]
	s_delay_alu instid0(VALU_DEP_3) | instskip(SKIP_2) | instid1(VALU_DEP_2)
	v_add_f64_e32 v[56:57], v[66:67], v[64:65]
	v_fma_f64 v[66:67], v[102:103], s[4:5], v[128:129]
	v_fma_f64 v[64:65], v[118:119], s[48:49], v[151:152]
	v_add_f64_e32 v[60:61], v[66:67], v[60:61]
	v_fma_f64 v[66:67], v[104:105], s[18:19], v[133:134]
	s_delay_alu instid0(VALU_DEP_2) | instskip(NEXT) | instid1(VALU_DEP_2)
	v_add_f64_e32 v[60:61], v[64:65], v[60:61]
	v_add_f64_e32 v[62:63], v[66:67], v[62:63]
	v_fma_f64 v[64:65], v[112:113], s[16:17], v[163:164]
	v_fma_f64 v[66:67], v[157:158], s[14:15], v[187:188]
	s_delay_alu instid0(VALU_DEP_4) | instskip(SKIP_1) | instid1(VALU_DEP_4)
	v_add_f64_e32 v[60:61], v[74:75], v[60:61]
	v_mul_f64_e32 v[74:75], s[16:17], v[94:95]
	v_add_f64_e32 v[62:63], v[64:65], v[62:63]
	v_fma_f64 v[64:65], v[130:131], s[36:37], v[175:176]
	s_delay_alu instid0(VALU_DEP_4) | instskip(SKIP_2) | instid1(VALU_DEP_4)
	v_add_f64_e32 v[60:61], v[76:77], v[60:61]
	v_mul_f64_e32 v[76:77], s[14:15], v[84:85]
	v_add_f64_e64 v[74:75], v[74:75], -v[96:97]
	v_add_f64_e32 v[62:63], v[64:65], v[62:63]
	v_fma_f64 v[64:65], v[145:146], s[20:21], v[181:182]
	s_delay_alu instid0(VALU_DEP_1)
	v_add_f64_e32 v[64:65], v[64:65], v[62:63]
	v_add_f64_e32 v[62:63], v[78:79], v[60:61]
	scratch_load_b64 v[78:79], off, off offset:12 th:TH_LOAD_LU ; 8-byte Folded Reload
	s_wait_loadcnt 0x1
	v_add_f64_e32 v[68:69], v[72:73], v[68:69]
	v_mul_f64_e32 v[72:73], s[24:25], v[104:105]
	v_add_f64_e32 v[60:61], v[66:67], v[64:65]
	v_mul_f64_e32 v[66:67], s[16:17], v[98:99]
	v_mul_f64_e32 v[64:65], s[24:25], v[106:107]
	v_add_f64_e32 v[68:69], v[68:69], v[126:127]
	v_add_f64_e64 v[72:73], v[72:73], -v[108:109]
	s_delay_alu instid0(VALU_DEP_4) | instskip(NEXT) | instid1(VALU_DEP_4)
	v_add_f64_e32 v[66:67], v[100:101], v[66:67]
	v_add_f64_e32 v[64:65], v[110:111], v[64:65]
	s_delay_alu instid0(VALU_DEP_2) | instskip(NEXT) | instid1(VALU_DEP_1)
	v_add_f64_e32 v[66:67], v[66:67], v[68:69]
	v_add_f64_e32 v[64:65], v[64:65], v[66:67]
	s_wait_loadcnt 0x0
	v_add_f64_e64 v[76:77], v[76:77], -v[78:79]
	v_mul_f64_e32 v[78:79], s[34:35], v[114:115]
	s_delay_alu instid0(VALU_DEP_2) | instskip(NEXT) | instid1(VALU_DEP_2)
	v_add_f64_e32 v[70:71], v[76:77], v[70:71]
	v_add_f64_e32 v[78:79], v[124:125], v[78:79]
	v_mul_f64_e32 v[76:77], s[20:21], v[137:138]
	s_delay_alu instid0(VALU_DEP_3) | instskip(SKIP_1) | instid1(VALU_DEP_3)
	v_add_f64_e32 v[68:69], v[74:75], v[70:71]
	v_mul_f64_e32 v[70:71], s[20:21], v[130:131]
	v_add_f64_e32 v[76:77], v[139:140], v[76:77]
	v_add_f64_e32 v[64:65], v[78:79], v[64:65]
	s_delay_alu instid0(VALU_DEP_4)
	v_add_f64_e32 v[66:67], v[72:73], v[68:69]
	v_mul_f64_e32 v[68:69], s[36:37], v[147:148]
	v_add_f64_e64 v[70:71], v[70:71], -v[135:136]
	v_mul_f64_e32 v[72:73], s[36:37], v[145:146]
	v_add_f64_e32 v[64:65], v[76:77], v[64:65]
	v_add_f64_e32 v[66:67], v[80:81], v[66:67]
	;; [unrolled: 1-line block ×3, first 2 shown]
	s_delay_alu instid0(VALU_DEP_4) | instskip(NEXT) | instid1(VALU_DEP_3)
	v_add_f64_e64 v[72:73], v[72:73], -v[149:150]
	v_add_f64_e32 v[66:67], v[70:71], v[66:67]
	v_mul_f64_e32 v[70:71], s[28:29], v[161:162]
	s_delay_alu instid0(VALU_DEP_4) | instskip(SKIP_1) | instid1(VALU_DEP_4)
	v_add_f64_e32 v[64:65], v[68:69], v[64:65]
	v_mul_f64_e32 v[68:69], s[28:29], v[157:158]
	v_add_f64_e32 v[72:73], v[72:73], v[66:67]
	s_delay_alu instid0(VALU_DEP_4) | instskip(NEXT) | instid1(VALU_DEP_3)
	v_add_f64_e32 v[70:71], v[165:166], v[70:71]
	v_add_f64_e64 v[68:69], v[68:69], -v[159:160]
	s_delay_alu instid0(VALU_DEP_2) | instskip(NEXT) | instid1(VALU_DEP_2)
	v_add_f64_e32 v[66:67], v[70:71], v[64:65]
	v_add_f64_e32 v[64:65], v[68:69], v[72:73]
	v_mul_lo_u16 v68, v244, 17
	s_delay_alu instid0(VALU_DEP_1) | instskip(NEXT) | instid1(VALU_DEP_1)
	v_and_b32_e32 v68, 0xffff, v68
	v_add_lshl_u32 v68, v132, v68, 4
	ds_store_b128 v68, v[32:35] offset:32
	ds_store_b128 v68, v[36:39] offset:48
	;; [unrolled: 1-line block ×15, first 2 shown]
	ds_store_b128 v68, v[16:19]
	ds_store_b128 v68, v[0:3] offset:256
.LBB0_7:
	s_or_b32 exec_lo, exec_lo, s33
	v_mul_u32_u24_e32 v12, 6, v244
	s_load_b128 s[4:7], s[2:3], 0x0
	global_wb scope:SCOPE_SE
	s_wait_dscnt 0x0
	s_wait_kmcnt 0x0
	s_barrier_signal -1
	s_barrier_wait -1
	v_lshlrev_b32_e32 v36, 4, v12
	global_inv scope:SCOPE_SE
	v_add_lshl_u32 v133, v132, v244, 4
	s_mov_b32 s2, 0x37e14327
	s_mov_b32 s10, 0x36b3c0b5
	s_clause 0x5
	global_load_b128 v[16:19], v36, s[0:1]
	global_load_b128 v[238:241], v36, s[0:1] offset:16
	global_load_b128 v[28:31], v36, s[0:1] offset:80
	;; [unrolled: 1-line block ×5, first 2 shown]
	ds_load_b128 v[37:40], v133 offset:544
	ds_load_b128 v[41:44], v133 offset:1088
	;; [unrolled: 1-line block ×12, first 2 shown]
	s_mov_b32 s14, 0xe976ee23
	s_mov_b32 s3, 0x3fe948f6
	;; [unrolled: 1-line block ×11, first 2 shown]
	s_wait_alu 0xfffe
	s_mov_b32 s22, s20
	v_mul_i32_i24_e32 v13, 0xffffffb0, v244
	v_add_co_u32 v14, s0, s0, v36
	v_mul_hi_i32_i24_e32 v12, 0xffffffb0, v244
	s_wait_alu 0xf1ff
	v_add_co_ci_u32_e64 v15, null, s1, 0, s0
	s_wait_loadcnt_dscnt 0x50b
	v_mul_f64_e32 v[85:86], v[39:40], v[18:19]
	v_mul_f64_e32 v[87:88], v[37:38], v[18:19]
	s_wait_loadcnt_dscnt 0x40a
	v_mul_f64_e32 v[89:90], v[43:44], v[240:241]
	v_mul_f64_e32 v[91:92], v[41:42], v[240:241]
	;; [unrolled: 3-line block ×4, first 2 shown]
	s_wait_dscnt 0x7
	v_mul_f64_e32 v[101:102], v[55:56], v[18:19]
	v_mul_f64_e32 v[103:104], v[53:54], v[18:19]
	s_wait_dscnt 0x6
	v_mul_f64_e32 v[105:106], v[59:60], v[240:241]
	v_mul_f64_e32 v[107:108], v[57:58], v[240:241]
	s_wait_dscnt 0x5
	v_mul_f64_e32 v[109:110], v[63:64], v[30:31]
	v_mul_f64_e32 v[111:112], v[61:62], v[30:31]
	s_wait_dscnt 0x4
	v_mul_f64_e32 v[113:114], v[67:68], v[34:35]
	v_mul_f64_e32 v[115:116], v[65:66], v[34:35]
	s_wait_loadcnt_dscnt 0x102
	v_mul_f64_e32 v[117:118], v[75:76], v[26:27]
	v_mul_f64_e32 v[119:120], v[73:74], v[26:27]
	s_wait_loadcnt 0x0
	v_mul_f64_e32 v[121:122], v[71:72], v[22:23]
	v_mul_f64_e32 v[123:124], v[69:70], v[22:23]
	v_fma_f64 v[37:38], v[37:38], v[16:17], -v[85:86]
	v_fma_f64 v[39:40], v[39:40], v[16:17], v[87:88]
	v_fma_f64 v[41:42], v[41:42], v[238:239], -v[89:90]
	v_fma_f64 v[43:44], v[43:44], v[238:239], v[91:92]
	;; [unrolled: 2-line block ×4, first 2 shown]
	s_wait_dscnt 0x1
	v_mul_f64_e32 v[85:86], v[79:80], v[26:27]
	v_mul_f64_e32 v[87:88], v[77:78], v[26:27]
	s_wait_dscnt 0x0
	v_mul_f64_e32 v[89:90], v[83:84], v[22:23]
	v_mul_f64_e32 v[91:92], v[81:82], v[22:23]
	v_fma_f64 v[53:54], v[53:54], v[16:17], -v[101:102]
	v_fma_f64 v[55:56], v[55:56], v[16:17], v[103:104]
	v_fma_f64 v[57:58], v[57:58], v[238:239], -v[105:106]
	v_fma_f64 v[59:60], v[59:60], v[238:239], v[107:108]
	;; [unrolled: 2-line block ×6, first 2 shown]
	v_add_f64_e32 v[93:94], v[37:38], v[45:46]
	v_add_f64_e32 v[95:96], v[39:40], v[47:48]
	;; [unrolled: 1-line block ×4, first 2 shown]
	v_fma_f64 v[77:78], v[77:78], v[24:25], -v[85:86]
	v_fma_f64 v[79:80], v[79:80], v[24:25], v[87:88]
	v_fma_f64 v[81:82], v[81:82], v[20:21], -v[89:90]
	v_fma_f64 v[83:84], v[83:84], v[20:21], v[91:92]
	v_add_f64_e64 v[49:50], v[41:42], -v[49:50]
	v_add_f64_e64 v[51:52], v[43:44], -v[51:52]
	;; [unrolled: 1-line block ×4, first 2 shown]
	v_add_f64_e32 v[85:86], v[53:54], v[61:62]
	v_add_f64_e32 v[87:88], v[55:56], v[63:64]
	;; [unrolled: 1-line block ×4, first 2 shown]
	v_add_f64_e64 v[57:58], v[57:58], -v[65:66]
	v_add_f64_e64 v[59:60], v[59:60], -v[67:68]
	v_add_f64_e32 v[101:102], v[73:74], v[69:70]
	v_add_f64_e32 v[103:104], v[75:76], v[71:72]
	v_add_f64_e64 v[69:70], v[69:70], -v[73:74]
	v_add_f64_e64 v[71:72], v[71:72], -v[75:76]
	;; [unrolled: 1-line block ×4, first 2 shown]
	v_add_f64_e32 v[37:38], v[97:98], v[93:94]
	v_add_f64_e32 v[39:40], v[99:100], v[95:96]
	;; [unrolled: 1-line block ×4, first 2 shown]
	v_add_f64_e64 v[65:66], v[81:82], -v[77:78]
	v_add_f64_e64 v[67:68], v[83:84], -v[79:80]
	;; [unrolled: 1-line block ×4, first 2 shown]
	v_add_f64_e32 v[61:62], v[89:90], v[85:86]
	v_add_f64_e32 v[63:64], v[91:92], v[87:88]
	v_add_f64_e64 v[73:74], v[93:94], -v[101:102]
	v_add_f64_e64 v[75:76], v[95:96], -v[103:104]
	v_add_f64_e64 v[77:78], v[101:102], -v[97:98]
	v_add_f64_e64 v[79:80], v[103:104], -v[99:100]
	v_add_f64_e64 v[81:82], v[69:70], -v[49:50]
	v_add_f64_e64 v[83:84], v[71:72], -v[51:52]
	v_add_f64_e64 v[117:118], v[57:58], -v[53:54]
	v_add_f64_e64 v[119:120], v[59:60], -v[55:56]
	v_add_f64_e64 v[93:94], v[97:98], -v[93:94]
	v_add_f64_e64 v[95:96], v[99:100], -v[95:96]
	v_add_f64_e32 v[49:50], v[69:70], v[49:50]
	v_add_f64_e32 v[51:52], v[71:72], v[51:52]
	v_add_f64_e64 v[69:70], v[45:46], -v[69:70]
	v_add_f64_e64 v[71:72], v[47:48], -v[71:72]
	v_add_f64_e32 v[101:102], v[101:102], v[37:38]
	v_add_f64_e32 v[103:104], v[103:104], v[39:40]
	v_add_f64_e64 v[109:110], v[85:86], -v[41:42]
	v_add_f64_e64 v[111:112], v[87:88], -v[43:44]
	;; [unrolled: 1-line block ×6, first 2 shown]
	v_add_f64_e32 v[57:58], v[65:66], v[57:58]
	v_add_f64_e32 v[59:60], v[67:68], v[59:60]
	;; [unrolled: 1-line block ×4, first 2 shown]
	ds_load_b128 v[37:40], v133
	ds_load_b128 v[41:44], v133 offset:272
	v_mul_f64_e32 v[125:126], s[16:17], v[105:106]
	v_mul_f64_e32 v[73:74], s[2:3], v[73:74]
	;; [unrolled: 1-line block ×8, first 2 shown]
	v_add_f64_e64 v[65:66], v[53:54], -v[65:66]
	v_add_f64_e64 v[67:68], v[55:56], -v[67:68]
	v_mul_f64_e32 v[129:130], s[16:17], v[117:118]
	v_mul_f64_e32 v[134:135], s[16:17], v[119:120]
	v_add_f64_e64 v[85:86], v[89:90], -v[85:86]
	v_add_f64_e64 v[87:88], v[91:92], -v[87:88]
	v_add_f64_e32 v[45:46], v[49:50], v[45:46]
	v_add_f64_e32 v[47:48], v[51:52], v[47:48]
	global_wb scope:SCOPE_SE
	s_wait_dscnt 0x0
	s_barrier_signal -1
	s_barrier_wait -1
	global_inv scope:SCOPE_SE
	v_add_f64_e32 v[37:38], v[37:38], v[101:102]
	v_add_f64_e32 v[39:40], v[39:40], v[103:104]
	v_mul_f64_e32 v[109:110], s[2:3], v[109:110]
	v_mul_f64_e32 v[111:112], s[2:3], v[111:112]
	;; [unrolled: 1-line block ×6, first 2 shown]
	s_mov_b32 s2, 0x5476071b
	s_mov_b32 s3, 0x3fe77f67
	v_add_f64_e32 v[41:42], v[41:42], v[61:62]
	v_add_f64_e32 v[43:44], v[43:44], v[63:64]
	s_mov_b32 s15, 0xbfe77f67
	s_wait_alu 0xfffe
	s_mov_b32 s14, s2
	v_add_f64_e32 v[49:50], v[57:58], v[53:54]
	v_add_f64_e32 v[51:52], v[59:60], v[55:56]
	v_fma_f64 v[53:54], v[77:78], s[10:11], v[73:74]
	v_fma_f64 v[55:56], v[79:80], s[10:11], v[75:76]
	v_fma_f64 v[57:58], v[93:94], s[2:3], -v[97:98]
	v_fma_f64 v[59:60], v[95:96], s[2:3], -v[99:100]
	v_fma_f64 v[77:78], v[69:70], s[20:21], v[81:82]
	v_fma_f64 v[79:80], v[71:72], s[20:21], v[83:84]
	v_fma_f64 v[69:70], v[69:70], s[22:23], -v[125:126]
	v_fma_f64 v[71:72], v[71:72], s[22:23], -v[127:128]
	s_wait_alu 0xfffe
	v_fma_f64 v[73:74], v[93:94], s[14:15], -v[73:74]
	v_fma_f64 v[75:76], v[95:96], s[14:15], -v[75:76]
	;; [unrolled: 1-line block ×4, first 2 shown]
	v_fma_f64 v[97:98], v[101:102], s[18:19], v[37:38]
	v_fma_f64 v[99:100], v[103:104], s[18:19], v[39:40]
	;; [unrolled: 1-line block ×6, first 2 shown]
	v_fma_f64 v[105:106], v[117:118], s[16:17], -v[113:114]
	v_fma_f64 v[107:108], v[119:120], s[16:17], -v[115:116]
	;; [unrolled: 1-line block ×4, first 2 shown]
	v_fma_f64 v[61:62], v[61:62], s[18:19], v[41:42]
	v_fma_f64 v[63:64], v[63:64], s[18:19], v[43:44]
	v_fma_f64 v[109:110], v[85:86], s[14:15], -v[109:110]
	v_fma_f64 v[111:112], v[87:88], s[14:15], -v[111:112]
	;; [unrolled: 1-line block ×4, first 2 shown]
	s_mov_b32 s2, 0x37c3f68c
	s_mov_b32 s3, 0x3fdc38aa
	v_lshl_add_u32 v134, v244, 4, v255
	v_add_nc_u32_e32 v135, v242, v255
	s_wait_alu 0xfffe
	v_fma_f64 v[77:78], v[45:46], s[2:3], v[77:78]
	v_fma_f64 v[79:80], v[47:48], s[2:3], v[79:80]
	;; [unrolled: 1-line block ×6, first 2 shown]
	v_add_f64_e32 v[89:90], v[53:54], v[97:98]
	v_add_f64_e32 v[91:92], v[55:56], v[99:100]
	;; [unrolled: 1-line block ×6, first 2 shown]
	v_fma_f64 v[97:98], v[49:50], s[2:3], v[101:102]
	v_fma_f64 v[99:100], v[51:52], s[2:3], v[103:104]
	;; [unrolled: 1-line block ×6, first 2 shown]
	v_add_f64_e32 v[93:94], v[93:94], v[61:62]
	v_add_f64_e32 v[95:96], v[95:96], v[63:64]
	;; [unrolled: 1-line block ×7, first 2 shown]
	v_add_f64_e64 v[47:48], v[91:92], -v[77:78]
	v_add_f64_e32 v[49:50], v[71:72], v[73:74]
	v_add_f64_e64 v[51:52], v[75:76], -v[69:70]
	v_add_f64_e64 v[53:54], v[57:58], -v[83:84]
	v_add_f64_e32 v[55:56], v[81:82], v[59:60]
	v_add_f64_e32 v[57:58], v[83:84], v[57:58]
	v_add_f64_e64 v[59:60], v[59:60], -v[81:82]
	v_add_f64_e64 v[61:62], v[73:74], -v[71:72]
	v_add_f64_e32 v[63:64], v[69:70], v[75:76]
	v_add_f64_e64 v[65:66], v[89:90], -v[79:80]
	v_add_f64_e32 v[67:68], v[77:78], v[91:92]
	v_add_f64_e32 v[69:70], v[99:100], v[93:94]
	v_add_f64_e64 v[71:72], v[95:96], -v[97:98]
	v_add_f64_e32 v[73:74], v[107:108], v[109:110]
	v_add_f64_e64 v[75:76], v[111:112], -v[105:106]
	v_add_f64_e64 v[77:78], v[85:86], -v[103:104]
	v_add_f64_e32 v[79:80], v[101:102], v[87:88]
	v_add_f64_e32 v[81:82], v[103:104], v[85:86]
	v_add_f64_e64 v[83:84], v[87:88], -v[101:102]
	v_add_f64_e64 v[85:86], v[109:110], -v[107:108]
	v_add_f64_e32 v[87:88], v[105:106], v[111:112]
	v_add_f64_e64 v[89:90], v[93:94], -v[99:100]
	v_add_f64_e32 v[91:92], v[97:98], v[95:96]
	v_add_co_u32 v93, s0, v14, v13
	s_wait_alu 0xf1ff
	v_add_co_ci_u32_e64 v94, s0, v15, v12, s0
	ds_store_b128 v133, v[37:40]
	ds_store_b128 v133, v[45:48] offset:272
	ds_store_b128 v133, v[49:52] offset:544
	;; [unrolled: 1-line block ×13, first 2 shown]
	global_wb scope:SCOPE_SE
	s_wait_dscnt 0x0
	s_barrier_signal -1
	s_barrier_wait -1
	global_inv scope:SCOPE_SE
	s_clause 0x6
	global_load_b128 v[198:201], v[93:94], off offset:1632
	global_load_b128 v[202:205], v[93:94], off offset:1904
	;; [unrolled: 1-line block ×7, first 2 shown]
	ds_load_b128 v[64:67], v133 offset:1904
	ds_load_b128 v[68:71], v133 offset:2176
	;; [unrolled: 1-line block ×8, first 2 shown]
	s_wait_loadcnt_dscnt 0x607
	v_mul_f64_e32 v[96:97], v[66:67], v[200:201]
	v_mul_f64_e32 v[98:99], v[64:65], v[200:201]
	s_wait_loadcnt_dscnt 0x506
	v_mul_f64_e32 v[100:101], v[70:71], v[204:205]
	v_mul_f64_e32 v[102:103], v[68:69], v[204:205]
	;; [unrolled: 3-line block ×7, first 2 shown]
	v_fma_f64 v[96:97], v[64:65], v[198:199], -v[96:97]
	v_fma_f64 v[98:99], v[66:67], v[198:199], v[98:99]
	v_fma_f64 v[124:125], v[68:69], v[202:203], -v[100:101]
	v_fma_f64 v[126:127], v[70:71], v[202:203], v[102:103]
	;; [unrolled: 2-line block ×7, first 2 shown]
	ds_load_b128 v[64:67], v133
	ds_load_b128 v[76:79], v133 offset:272
	ds_load_b128 v[84:87], v133 offset:544
	;; [unrolled: 1-line block ×5, first 2 shown]
	s_wait_dscnt 0x5
	v_add_f64_e64 v[68:69], v[64:65], -v[96:97]
	v_add_f64_e64 v[70:71], v[66:67], -v[98:99]
	s_wait_dscnt 0x4
	v_add_f64_e64 v[72:73], v[76:77], -v[124:125]
	v_add_f64_e64 v[74:75], v[78:79], -v[126:127]
	s_wait_dscnt 0x3
	v_add_f64_e64 v[80:81], v[84:85], -v[104:105]
	v_add_f64_e64 v[82:83], v[86:87], -v[106:107]
	s_wait_dscnt 0x2
	v_add_f64_e64 v[104:105], v[100:101], -v[108:109]
	v_add_f64_e64 v[106:107], v[102:103], -v[110:111]
	s_wait_dscnt 0x1
	v_add_f64_e64 v[108:109], v[112:113], -v[128:129]
	v_add_f64_e64 v[110:111], v[114:115], -v[130:131]
	s_wait_dscnt 0x0
	v_add_f64_e64 v[96:97], v[120:121], -v[116:117]
	v_add_f64_e64 v[98:99], v[122:123], -v[118:119]
	v_add_f64_e64 v[88:89], v[92:93], -v[88:89]
	v_add_f64_e64 v[90:91], v[94:95], -v[90:91]
	v_fma_f64 v[64:65], v[64:65], 2.0, -v[68:69]
	v_fma_f64 v[66:67], v[66:67], 2.0, -v[70:71]
	;; [unrolled: 1-line block ×14, first 2 shown]
	ds_store_b128 v134, v[72:75] offset:2176
	ds_store_b128 v134, v[64:67]
	ds_store_b128 v134, v[76:79] offset:272
	ds_store_b128 v134, v[68:71] offset:1904
	ds_store_b128 v134, v[84:87] offset:544
	ds_store_b128 v135, v[80:83] offset:2448
	ds_store_b128 v134, v[100:103] offset:816
	ds_store_b128 v135, v[104:107] offset:2720
	ds_store_b128 v134, v[116:119] offset:1088
	ds_store_b128 v135, v[108:111] offset:2992
	ds_store_b128 v134, v[112:115] offset:1360
	ds_store_b128 v135, v[96:99] offset:3264
	ds_store_b128 v134, v[92:95] offset:1632
	ds_store_b128 v135, v[88:91] offset:3536
	global_wb scope:SCOPE_SE
	s_wait_dscnt 0x0
	s_barrier_signal -1
	s_barrier_wait -1
	global_inv scope:SCOPE_SE
	s_and_saveexec_b32 s2, vcc_lo
	s_cbranch_execz .LBB0_9
; %bb.8:
	global_load_b128 v[120:123], v242, s[8:9] offset:3808
	s_add_nc_u64 s[0:1], s[8:9], 0xee0
	s_clause 0x3
	global_load_b128 v[124:127], v242, s[0:1] offset:224
	global_load_b128 v[128:131], v242, s[0:1] offset:448
	global_load_b128 v[136:139], v242, s[0:1] offset:672
	global_load_b128 v[140:143], v242, s[0:1] offset:896
	ds_load_b128 v[144:147], v134
	ds_load_b128 v[148:151], v134 offset:224
	ds_load_b128 v[152:155], v134 offset:448
	s_wait_loadcnt_dscnt 0x301
	v_mul_f64_e32 v[160:161], v[150:151], v[126:127]
	v_mul_f64_e32 v[156:157], v[146:147], v[122:123]
	;; [unrolled: 1-line block ×4, first 2 shown]
	s_delay_alu instid0(VALU_DEP_4) | instskip(NEXT) | instid1(VALU_DEP_4)
	v_fma_f64 v[148:149], v[148:149], v[124:125], -v[160:161]
	v_fma_f64 v[144:145], v[144:145], v[120:121], -v[156:157]
	s_delay_alu instid0(VALU_DEP_4)
	v_fma_f64 v[146:147], v[146:147], v[120:121], v[122:123]
	ds_load_b128 v[120:123], v134 offset:672
	global_load_b128 v[156:159], v242, s[0:1] offset:1120
	v_fma_f64 v[150:151], v[150:151], v[124:125], v[126:127]
	s_wait_loadcnt_dscnt 0x301
	v_mul_f64_e32 v[124:125], v[154:155], v[130:131]
	v_mul_f64_e32 v[126:127], v[152:153], v[130:131]
	s_wait_loadcnt_dscnt 0x200
	v_mul_f64_e32 v[160:161], v[122:123], v[138:139]
	v_mul_f64_e32 v[138:139], v[120:121], v[138:139]
	s_delay_alu instid0(VALU_DEP_4) | instskip(NEXT) | instid1(VALU_DEP_4)
	v_fma_f64 v[124:125], v[152:153], v[128:129], -v[124:125]
	v_fma_f64 v[126:127], v[154:155], v[128:129], v[126:127]
	ds_load_b128 v[128:131], v134 offset:896
	ds_load_b128 v[152:155], v134 offset:1120
	v_fma_f64 v[120:121], v[120:121], v[136:137], -v[160:161]
	v_fma_f64 v[122:123], v[122:123], v[136:137], v[138:139]
	global_load_b128 v[136:139], v242, s[0:1] offset:1344
	s_wait_loadcnt_dscnt 0x201
	v_mul_f64_e32 v[160:161], v[130:131], v[142:143]
	v_mul_f64_e32 v[142:143], v[128:129], v[142:143]
	s_delay_alu instid0(VALU_DEP_2) | instskip(NEXT) | instid1(VALU_DEP_2)
	v_fma_f64 v[128:129], v[128:129], v[140:141], -v[160:161]
	v_fma_f64 v[130:131], v[130:131], v[140:141], v[142:143]
	global_load_b128 v[140:143], v242, s[0:1] offset:1568
	s_wait_loadcnt_dscnt 0x200
	v_mul_f64_e32 v[160:161], v[154:155], v[158:159]
	v_mul_f64_e32 v[158:159], v[152:153], v[158:159]
	s_delay_alu instid0(VALU_DEP_2) | instskip(NEXT) | instid1(VALU_DEP_2)
	v_fma_f64 v[152:153], v[152:153], v[156:157], -v[160:161]
	v_fma_f64 v[154:155], v[154:155], v[156:157], v[158:159]
	ds_load_b128 v[156:159], v134 offset:1344
	ds_load_b128 v[160:163], v134 offset:1568
	s_wait_loadcnt_dscnt 0x101
	v_mul_f64_e32 v[164:165], v[158:159], v[138:139]
	v_mul_f64_e32 v[138:139], v[156:157], v[138:139]
	s_delay_alu instid0(VALU_DEP_2) | instskip(NEXT) | instid1(VALU_DEP_2)
	v_fma_f64 v[156:157], v[156:157], v[136:137], -v[164:165]
	v_fma_f64 v[158:159], v[158:159], v[136:137], v[138:139]
	s_wait_loadcnt_dscnt 0x0
	v_mul_f64_e32 v[136:137], v[162:163], v[142:143]
	v_mul_f64_e32 v[138:139], v[160:161], v[142:143]
	s_delay_alu instid0(VALU_DEP_2) | instskip(NEXT) | instid1(VALU_DEP_2)
	v_fma_f64 v[136:137], v[160:161], v[140:141], -v[136:137]
	v_fma_f64 v[138:139], v[162:163], v[140:141], v[138:139]
	s_clause 0x1
	global_load_b128 v[140:143], v242, s[0:1] offset:1792
	global_load_b128 v[160:163], v242, s[0:1] offset:2016
	ds_load_b128 v[164:167], v134 offset:1792
	ds_load_b128 v[168:171], v134 offset:2016
	s_wait_loadcnt_dscnt 0x101
	v_mul_f64_e32 v[172:173], v[166:167], v[142:143]
	v_mul_f64_e32 v[142:143], v[164:165], v[142:143]
	s_delay_alu instid0(VALU_DEP_2) | instskip(NEXT) | instid1(VALU_DEP_2)
	v_fma_f64 v[164:165], v[164:165], v[140:141], -v[172:173]
	v_fma_f64 v[166:167], v[166:167], v[140:141], v[142:143]
	s_wait_loadcnt_dscnt 0x0
	v_mul_f64_e32 v[140:141], v[170:171], v[162:163]
	v_mul_f64_e32 v[142:143], v[168:169], v[162:163]
	s_delay_alu instid0(VALU_DEP_2) | instskip(NEXT) | instid1(VALU_DEP_2)
	v_fma_f64 v[140:141], v[168:169], v[160:161], -v[140:141]
	v_fma_f64 v[142:143], v[170:171], v[160:161], v[142:143]
	s_clause 0x1
	global_load_b128 v[160:163], v242, s[0:1] offset:2240
	global_load_b128 v[168:171], v242, s[0:1] offset:2464
	;; [unrolled: 17-line block ×4, first 2 shown]
	ds_load_b128 v[188:191], v134 offset:3136
	ds_load_b128 v[192:195], v134 offset:3360
	s_wait_loadcnt_dscnt 0x101
	v_mul_f64_e32 v[196:197], v[190:191], v[178:179]
	v_mul_f64_e32 v[178:179], v[188:189], v[178:179]
	s_delay_alu instid0(VALU_DEP_2) | instskip(NEXT) | instid1(VALU_DEP_2)
	v_fma_f64 v[188:189], v[188:189], v[176:177], -v[196:197]
	v_fma_f64 v[190:191], v[190:191], v[176:177], v[178:179]
	s_wait_loadcnt_dscnt 0x0
	v_mul_f64_e32 v[176:177], v[194:195], v[186:187]
	v_mul_f64_e32 v[178:179], v[192:193], v[186:187]
	s_delay_alu instid0(VALU_DEP_2) | instskip(NEXT) | instid1(VALU_DEP_2)
	v_fma_f64 v[176:177], v[192:193], v[184:185], -v[176:177]
	v_fma_f64 v[178:179], v[194:195], v[184:185], v[178:179]
	global_load_b128 v[184:187], v242, s[0:1] offset:3584
	ds_load_b128 v[192:195], v134 offset:3584
	s_wait_loadcnt_dscnt 0x0
	v_mul_f64_e32 v[196:197], v[194:195], v[186:187]
	v_mul_f64_e32 v[186:187], v[192:193], v[186:187]
	s_delay_alu instid0(VALU_DEP_2) | instskip(NEXT) | instid1(VALU_DEP_2)
	v_fma_f64 v[192:193], v[192:193], v[184:185], -v[196:197]
	v_fma_f64 v[194:195], v[194:195], v[184:185], v[186:187]
	ds_store_b128 v134, v[144:147]
	ds_store_b128 v134, v[148:151] offset:224
	ds_store_b128 v134, v[124:127] offset:448
	;; [unrolled: 1-line block ×16, first 2 shown]
.LBB0_9:
	s_wait_alu 0xfffe
	s_or_b32 exec_lo, exec_lo, s2
	global_wb scope:SCOPE_SE
	s_wait_dscnt 0x0
	s_barrier_signal -1
	s_barrier_wait -1
	global_inv scope:SCOPE_SE
	s_and_saveexec_b32 s0, vcc_lo
	s_cbranch_execz .LBB0_11
; %bb.10:
	ds_load_b128 v[64:67], v134
	ds_load_b128 v[68:71], v134 offset:224
	ds_load_b128 v[76:79], v134 offset:448
	;; [unrolled: 1-line block ×16, first 2 shown]
.LBB0_11:
	s_wait_alu 0xfffe
	s_or_b32 exec_lo, exec_lo, s0
	v_add_nc_u32_e32 v124, 0x220, v135
	v_add_nc_u32_e32 v123, 0x330, v135
	;; [unrolled: 1-line block ×5, first 2 shown]
	global_wb scope:SCOPE_SE
	s_wait_dscnt 0x0
	s_barrier_signal -1
	s_barrier_wait -1
	global_inv scope:SCOPE_SE
	s_and_saveexec_b32 s33, vcc_lo
	s_cbranch_execz .LBB0_13
; %bb.12:
	s_clause 0x3
	scratch_store_b32 off, v120, off offset:28
	scratch_store_b32 off, v121, off offset:36
	;; [unrolled: 1-line block ×4, first 2 shown]
	v_add_f64_e32 v[122:123], v[64:65], v[68:69]
	v_add_f64_e32 v[120:121], v[66:67], v[70:71]
	s_clause 0x1
	scratch_store_b32 off, v124, off offset:48
	scratch_store_b32 off, v255, off offset:316
	s_mov_b32 s24, 0x6c9a05f6
	s_mov_b32 s25, 0xbfe9895b
	;; [unrolled: 1-line block ×11, first 2 shown]
	s_wait_alu 0xfffe
	s_mov_b32 s42, s26
	s_mov_b32 s16, 0x3259b75e
	s_mov_b32 s17, 0x3fb79ee6
	s_mov_b32 s44, 0x7c9e640b
	s_mov_b32 s45, 0x3feca52d
	s_mov_b32 s37, 0xbfeca52d
	s_wait_alu 0xfffe
	s_mov_b32 s36, s44
	s_mov_b32 s18, 0x2b2883cd
	s_mov_b32 s19, 0x3fdc86fa
	s_mov_b32 s34, 0x2a9d6da3
	s_mov_b32 s35, 0x3fe58eea
	s_mov_b32 s49, 0xbfe58eea
	;; [unrolled: 7-line block ×3, first 2 shown]
	s_mov_b32 s31, 0xbfc7851a
	s_mov_b32 s39, 0xbfe0d888
	;; [unrolled: 1-line block ×4, first 2 shown]
	s_wait_alu 0xfffe
	s_mov_b32 s28, s40
	v_add_f64_e32 v[122:123], v[122:123], v[76:77]
	v_add_f64_e32 v[120:121], v[120:121], v[78:79]
	s_mov_b32 s2, 0x910ea3b9
	s_mov_b32 s0, 0x7faef3
	;; [unrolled: 1-line block ×6, first 2 shown]
	scratch_store_b128 off, v[206:209], off offset:12 ; 16-byte Folded Spill
	s_mov_b32 s51, 0x3fe9895b
	s_mov_b32 s50, s24
	;; [unrolled: 1-line block ×4, first 2 shown]
	v_dual_mov_b32 v255, v243 :: v_dual_mov_b32 v60, v198
	v_dual_mov_b32 v61, v199 :: v_dual_mov_b32 v62, v200
	v_mov_b32_e32 v63, v201
	v_add_f64_e32 v[122:123], v[122:123], v[72:73]
	v_add_f64_e32 v[120:121], v[120:121], v[74:75]
	s_delay_alu instid0(VALU_DEP_2) | instskip(NEXT) | instid1(VALU_DEP_2)
	v_add_f64_e32 v[122:123], v[122:123], v[84:85]
	v_add_f64_e32 v[120:121], v[120:121], v[86:87]
	s_delay_alu instid0(VALU_DEP_2) | instskip(NEXT) | instid1(VALU_DEP_2)
	;; [unrolled: 3-line block ×5, first 2 shown]
	v_add_f64_e32 v[126:127], v[122:123], v[116:117]
	v_add_f64_e32 v[124:125], v[120:121], v[118:119]
	v_add_f64_e64 v[122:123], v[116:117], -v[108:109]
	v_add_f64_e32 v[116:117], v[116:117], v[108:109]
	v_add_f64_e32 v[120:121], v[118:119], v[110:111]
	v_add_f64_e64 v[118:119], v[118:119], -v[110:111]
	v_add_f64_e32 v[126:127], v[126:127], v[108:109]
	v_add_f64_e32 v[128:129], v[124:125], v[110:111]
	;; [unrolled: 1-line block ×3, first 2 shown]
	v_add_f64_e64 v[124:125], v[106:107], -v[114:115]
	v_add_f64_e64 v[110:111], v[104:105], -v[112:113]
	v_add_f64_e32 v[104:105], v[104:105], v[112:113]
	v_add_f64_e32 v[106:107], v[102:103], v[98:99]
	v_add_f64_e64 v[102:103], v[102:103], -v[98:99]
	v_mul_f64_e32 v[210:211], s[26:27], v[122:123]
	v_mul_f64_e32 v[212:213], s[26:27], v[118:119]
	;; [unrolled: 1-line block ×6, first 2 shown]
	v_add_f64_e32 v[126:127], v[126:127], v[112:113]
	v_add_f64_e32 v[114:115], v[128:129], v[114:115]
	v_add_f64_e64 v[112:113], v[100:101], -v[96:97]
	v_add_f64_e32 v[100:101], v[100:101], v[96:97]
	v_mul_f64_e32 v[40:41], s[44:45], v[124:125]
	s_wait_alu 0xfffe
	v_mul_f64_e32 v[232:233], s[50:51], v[110:111]
	v_mul_f64_e32 v[198:199], s[50:51], v[124:125]
	;; [unrolled: 1-line block ×4, first 2 shown]
	v_fma_f64 v[46:47], v[120:121], s[22:23], -v[44:45]
	v_add_f64_e32 v[126:127], v[126:127], v[96:97]
	v_add_f64_e32 v[128:129], v[114:115], v[98:99]
	;; [unrolled: 1-line block ×3, first 2 shown]
	v_add_f64_e64 v[114:115], v[82:83], -v[94:95]
	v_add_f64_e32 v[82:83], v[84:85], v[88:89]
	v_add_f64_e64 v[98:99], v[80:81], -v[92:93]
	v_add_f64_e32 v[80:81], v[80:81], v[92:93]
	v_mul_f64_e32 v[200:201], s[52:53], v[112:113]
	v_fma_f64 v[42:43], v[104:105], s[18:19], v[40:41]
	v_add_f64_e32 v[126:127], v[126:127], v[92:93]
	v_add_f64_e32 v[128:129], v[128:129], v[94:95]
	v_add_f64_e64 v[94:95], v[84:85], -v[88:89]
	v_add_f64_e32 v[92:93], v[86:87], v[90:91]
	v_add_f64_e64 v[86:87], v[86:87], -v[90:91]
	v_add_f64_e32 v[84:85], v[74:75], v[10:11]
	v_mul_f64_e32 v[196:197], s[46:47], v[114:115]
	v_mul_f64_e32 v[226:227], s[36:37], v[98:99]
	;; [unrolled: 1-line block ×3, first 2 shown]
	v_add_f64_e32 v[126:127], v[126:127], v[88:89]
	v_add_f64_e32 v[128:129], v[128:129], v[90:91]
	v_add_f64_e64 v[88:89], v[72:73], -v[8:9]
	v_add_f64_e32 v[72:73], v[72:73], v[8:9]
	v_add_f64_e64 v[90:91], v[74:75], -v[10:11]
	v_add_f64_e32 v[74:75], v[78:79], v[6:7]
	v_mul_f64_e32 v[137:138], s[30:31], v[94:95]
	v_mul_f64_e32 v[56:57], s[52:53], v[86:87]
	;; [unrolled: 1-line block ×4, first 2 shown]
	v_add_f64_e32 v[8:9], v[126:127], v[8:9]
	v_add_f64_e32 v[10:11], v[128:129], v[10:11]
	v_add_f64_e64 v[128:129], v[76:77], -v[4:5]
	v_add_f64_e32 v[76:77], v[76:77], v[4:5]
	v_add_f64_e64 v[126:127], v[78:79], -v[6:7]
	v_mul_f64_e32 v[135:136], s[24:25], v[90:91]
	v_mul_f64_e32 v[12:13], s[52:53], v[90:91]
	v_fma_f64 v[58:59], v[82:83], s[14:15], v[56:57]
	v_add_f64_e32 v[4:5], v[8:9], v[4:5]
	v_add_f64_e64 v[8:9], v[68:69], -v[0:1]
	v_add_f64_e32 v[6:7], v[10:11], v[6:7]
	v_add_f64_e64 v[10:11], v[70:71], -v[2:3]
	v_add_f64_e32 v[70:71], v[70:71], v[2:3]
	v_add_f64_e32 v[68:69], v[68:69], v[0:1]
	v_mul_f64_e32 v[253:254], s[42:43], v[126:127]
	v_mul_f64_e32 v[48:49], s[24:25], v[126:127]
	v_add_f64_e32 v[0:1], v[4:5], v[0:1]
	v_mul_f64_e32 v[78:79], s[24:25], v[8:9]
	v_add_f64_e32 v[2:3], v[6:7], v[2:3]
	v_mul_f64_e32 v[164:165], s[24:25], v[10:11]
	v_mul_f64_e32 v[130:131], s[46:47], v[8:9]
	;; [unrolled: 1-line block ×13, first 2 shown]
	v_fma_f64 v[50:51], v[76:77], s[10:11], v[48:49]
	v_fma_f64 v[150:151], v[70:71], s[10:11], v[78:79]
	v_fma_f64 v[78:79], v[70:71], s[10:11], -v[78:79]
	scratch_store_b128 off, v[0:3], off offset:52 ; 16-byte Folded Spill
	v_fma_f64 v[178:179], v[68:69], s[10:11], -v[164:165]
	v_fma_f64 v[164:165], v[68:69], s[10:11], v[164:165]
	v_fma_f64 v[152:153], v[70:71], s[14:15], v[130:131]
	v_fma_f64 v[180:181], v[68:69], s[14:15], -v[166:167]
	v_fma_f64 v[154:155], v[70:71], s[16:17], v[140:141]
	v_fma_f64 v[182:183], v[68:69], s[16:17], -v[168:169]
	v_fma_f64 v[156:157], v[70:71], s[18:19], -v[142:143]
	v_fma_f64 v[142:143], v[70:71], s[18:19], v[142:143]
	v_fma_f64 v[184:185], v[68:69], s[18:19], v[170:171]
	v_fma_f64 v[170:171], v[68:69], s[18:19], -v[170:171]
	v_fma_f64 v[158:159], v[70:71], s[20:21], -v[144:145]
	v_fma_f64 v[144:145], v[70:71], s[20:21], v[144:145]
	v_fma_f64 v[186:187], v[68:69], s[20:21], v[172:173]
	v_fma_f64 v[172:173], v[68:69], s[20:21], -v[172:173]
	v_fma_f64 v[146:147], v[70:71], s[0:1], v[4:5]
	v_fma_f64 v[4:5], v[70:71], s[0:1], -v[4:5]
	;; [unrolled: 2-line block ×3, first 2 shown]
	v_fma_f64 v[130:131], v[70:71], s[14:15], -v[130:131]
	v_fma_f64 v[140:141], v[70:71], s[16:17], -v[140:141]
	v_fma_f64 v[160:161], v[70:71], s[22:23], -v[8:9]
	v_fma_f64 v[8:9], v[70:71], s[22:23], v[8:9]
	v_mul_f64_e32 v[70:71], s[30:31], v[10:11]
	v_mul_f64_e32 v[10:11], s[28:29], v[10:11]
	v_fma_f64 v[176:177], v[68:69], s[2:3], -v[162:163]
	v_fma_f64 v[162:163], v[68:69], s[2:3], v[162:163]
	v_fma_f64 v[166:167], v[68:69], s[14:15], v[166:167]
	;; [unrolled: 1-line block ×3, first 2 shown]
	v_add_f64_e32 v[150:151], v[66:67], v[150:151]
	v_add_f64_e32 v[0:1], v[66:67], v[78:79]
	v_mul_f64_e32 v[78:79], s[24:25], v[88:89]
	v_add_f64_e32 v[178:179], v[64:65], v[178:179]
	v_add_f64_e32 v[156:157], v[66:67], v[156:157]
	v_add_f64_e32 v[184:185], v[64:65], v[184:185]
	v_add_f64_e32 v[146:147], v[66:67], v[146:147]
	v_add_f64_e32 v[190:191], v[66:67], v[4:5]
	v_add_f64_e32 v[148:149], v[66:67], v[148:149]
	v_add_f64_e32 v[194:195], v[66:67], v[6:7]
	v_add_f64_e32 v[38:39], v[66:67], v[140:141]
	v_fma_f64 v[174:175], v[68:69], s[0:1], -v[70:71]
	v_fma_f64 v[70:71], v[68:69], s[0:1], v[70:71]
	v_fma_f64 v[188:189], v[68:69], s[22:23], v[10:11]
	v_fma_f64 v[10:11], v[68:69], s[22:23], -v[10:11]
	v_add_f64_e32 v[176:177], v[64:65], v[176:177]
	v_add_f64_e32 v[162:163], v[64:65], v[162:163]
	;; [unrolled: 1-line block ×4, first 2 shown]
	scratch_store_b64 off, v[0:1], off offset:236 ; 8-byte Folded Spill
	v_add_f64_e32 v[0:1], v[64:65], v[164:165]
	v_add_f64_e32 v[164:165], v[66:67], v[130:131]
	v_mul_f64_e32 v[130:131], s[30:31], v[118:119]
	v_add_f64_e32 v[50:51], v[50:51], v[184:185]
	v_add_f64_e32 v[174:175], v[64:65], v[174:175]
	;; [unrolled: 1-line block ×3, first 2 shown]
	scratch_store_b64 off, v[0:1], off offset:228 ; 8-byte Folded Spill
	v_add_f64_e32 v[0:1], v[66:67], v[152:153]
	v_add_f64_e32 v[152:153], v[66:67], v[158:159]
	;; [unrolled: 1-line block ×3, first 2 shown]
	scratch_store_b64 off, v[0:1], off offset:204 ; 8-byte Folded Spill
	v_add_f64_e32 v[0:1], v[64:65], v[180:181]
	v_mul_f64_e32 v[180:181], s[24:25], v[102:103]
	scratch_store_b64 off, v[0:1], off offset:196 ; 8-byte Folded Spill
	v_add_f64_e32 v[0:1], v[66:67], v[154:155]
	v_add_f64_e32 v[154:155], v[66:67], v[160:161]
	;; [unrolled: 1-line block ×3, first 2 shown]
	v_mul_f64_e32 v[186:187], s[24:25], v[112:113]
	scratch_store_b64 off, v[0:1], off offset:172 ; 8-byte Folded Spill
	v_add_f64_e32 v[0:1], v[64:65], v[182:183]
	v_mul_f64_e32 v[182:183], s[38:39], v[112:113]
	scratch_store_b64 off, v[0:1], off offset:164 ; 8-byte Folded Spill
	v_add_f64_e32 v[0:1], v[66:67], v[142:143]
	scratch_store_b64 off, v[0:1], off offset:156 ; 8-byte Folded Spill
	v_add_f64_e32 v[0:1], v[64:65], v[170:171]
	v_mul_f64_e32 v[170:171], s[52:53], v[102:103]
	scratch_store_b64 off, v[0:1], off offset:148 ; 8-byte Folded Spill
	v_add_f64_e32 v[0:1], v[66:67], v[144:145]
	scratch_store_b64 off, v[0:1], off offset:124 ; 8-byte Folded Spill
	v_add_f64_e32 v[0:1], v[64:65], v[172:173]
	;; [unrolled: 2-line block ×3, first 2 shown]
	v_mul_f64_e32 v[8:9], s[40:41], v[128:129]
	scratch_store_b64 off, v[0:1], off offset:108 ; 8-byte Folded Spill
	v_add_f64_e32 v[0:1], v[64:65], v[10:11]
	v_fma_f64 v[4:5], v[74:75], s[22:23], v[8:9]
	v_mul_f64_e32 v[64:65], s[38:39], v[88:89]
	v_mul_f64_e32 v[10:11], s[40:41], v[126:127]
	v_fma_f64 v[8:9], v[74:75], s[22:23], -v[8:9]
	scratch_store_b64 off, v[0:1], off offset:100 ; 8-byte Folded Spill
	v_add_f64_e32 v[4:5], v[4:5], v[146:147]
	v_fma_f64 v[66:67], v[84:85], s[2:3], v[64:65]
	v_fma_f64 v[6:7], v[76:77], s[22:23], -v[10:11]
	v_add_f64_e32 v[8:9], v[8:9], v[190:191]
	v_fma_f64 v[10:11], v[76:77], s[22:23], v[10:11]
	v_fma_f64 v[64:65], v[84:85], s[2:3], -v[64:65]
	v_add_f64_e32 v[4:5], v[66:67], v[4:5]
	v_mul_f64_e32 v[66:67], s[38:39], v[90:91]
	v_add_f64_e32 v[6:7], v[6:7], v[174:175]
	v_add_f64_e32 v[10:11], v[10:11], v[192:193]
	;; [unrolled: 1-line block ×3, first 2 shown]
	s_delay_alu instid0(VALU_DEP_4) | instskip(SKIP_2) | instid1(VALU_DEP_3)
	v_fma_f64 v[140:141], v[72:73], s[2:3], -v[66:67]
	v_fma_f64 v[64:65], v[72:73], s[2:3], v[66:67]
	v_fma_f64 v[66:67], v[116:117], s[16:17], v[212:213]
	v_add_f64_e32 v[6:7], v[140:141], v[6:7]
	v_mul_f64_e32 v[140:141], s[34:35], v[94:95]
	s_delay_alu instid0(VALU_DEP_4) | instskip(NEXT) | instid1(VALU_DEP_2)
	v_add_f64_e32 v[10:11], v[64:65], v[10:11]
	v_fma_f64 v[142:143], v[92:93], s[20:21], v[140:141]
	v_fma_f64 v[64:65], v[92:93], s[20:21], -v[140:141]
	v_mul_f64_e32 v[140:141], s[44:45], v[128:129]
	s_delay_alu instid0(VALU_DEP_3) | instskip(SKIP_1) | instid1(VALU_DEP_4)
	v_add_f64_e32 v[4:5], v[142:143], v[4:5]
	v_mul_f64_e32 v[142:143], s[34:35], v[86:87]
	v_add_f64_e32 v[8:9], v[64:65], v[8:9]
	s_delay_alu instid0(VALU_DEP_2) | instskip(SKIP_2) | instid1(VALU_DEP_3)
	v_fma_f64 v[144:145], v[82:83], s[20:21], -v[142:143]
	v_fma_f64 v[64:65], v[82:83], s[20:21], v[142:143]
	v_mul_f64_e32 v[142:143], s[44:45], v[126:127]
	v_add_f64_e32 v[6:7], v[144:145], v[6:7]
	v_mul_f64_e32 v[144:145], s[24:25], v[98:99]
	s_delay_alu instid0(VALU_DEP_4) | instskip(NEXT) | instid1(VALU_DEP_2)
	v_add_f64_e32 v[10:11], v[64:65], v[10:11]
	v_fma_f64 v[146:147], v[96:97], s[10:11], v[144:145]
	v_fma_f64 v[64:65], v[96:97], s[10:11], -v[144:145]
	v_mul_f64_e32 v[144:145], s[42:43], v[88:89]
	s_delay_alu instid0(VALU_DEP_3) | instskip(SKIP_1) | instid1(VALU_DEP_4)
	v_add_f64_e32 v[4:5], v[146:147], v[4:5]
	v_mul_f64_e32 v[146:147], s[24:25], v[114:115]
	v_add_f64_e32 v[8:9], v[64:65], v[8:9]
	s_delay_alu instid0(VALU_DEP_2) | instskip(SKIP_3) | instid1(VALU_DEP_4)
	v_fma_f64 v[172:173], v[80:81], s[10:11], -v[146:147]
	v_fma_f64 v[64:65], v[80:81], s[10:11], v[146:147]
	v_fma_f64 v[146:147], v[84:85], s[16:17], v[144:145]
	v_fma_f64 v[144:145], v[84:85], s[16:17], -v[144:145]
	v_add_f64_e32 v[6:7], v[172:173], v[6:7]
	v_mul_f64_e32 v[172:173], s[44:45], v[112:113]
	v_add_f64_e32 v[10:11], v[64:65], v[10:11]
	s_delay_alu instid0(VALU_DEP_2) | instskip(SKIP_1) | instid1(VALU_DEP_2)
	v_fma_f64 v[174:175], v[106:107], s[18:19], v[172:173]
	v_fma_f64 v[64:65], v[106:107], s[18:19], -v[172:173]
	v_add_f64_e32 v[4:5], v[174:175], v[4:5]
	v_mul_f64_e32 v[174:175], s[44:45], v[102:103]
	s_delay_alu instid0(VALU_DEP_3) | instskip(NEXT) | instid1(VALU_DEP_2)
	v_add_f64_e32 v[8:9], v[64:65], v[8:9]
	v_fma_f64 v[188:189], v[100:101], s[18:19], -v[174:175]
	v_fma_f64 v[64:65], v[100:101], s[18:19], v[174:175]
	s_delay_alu instid0(VALU_DEP_2) | instskip(SKIP_1) | instid1(VALU_DEP_3)
	v_add_f64_e32 v[6:7], v[188:189], v[6:7]
	v_mul_f64_e32 v[188:189], s[46:47], v[110:111]
	v_add_f64_e32 v[10:11], v[64:65], v[10:11]
	s_delay_alu instid0(VALU_DEP_2) | instskip(SKIP_1) | instid1(VALU_DEP_2)
	v_fma_f64 v[206:207], v[108:109], s[14:15], v[188:189]
	v_fma_f64 v[64:65], v[108:109], s[14:15], -v[188:189]
	v_add_f64_e32 v[4:5], v[206:207], v[4:5]
	v_mul_f64_e32 v[206:207], s[46:47], v[124:125]
	s_delay_alu instid0(VALU_DEP_3) | instskip(NEXT) | instid1(VALU_DEP_2)
	v_add_f64_e32 v[8:9], v[64:65], v[8:9]
	v_fma_f64 v[208:209], v[104:105], s[14:15], -v[206:207]
	v_fma_f64 v[64:65], v[104:105], s[14:15], v[206:207]
	s_delay_alu instid0(VALU_DEP_2) | instskip(SKIP_1) | instid1(VALU_DEP_3)
	v_add_f64_e32 v[208:209], v[208:209], v[6:7]
	v_fma_f64 v[6:7], v[120:121], s[16:17], v[210:211]
	v_add_f64_e32 v[64:65], v[64:65], v[10:11]
	v_fma_f64 v[10:11], v[120:121], s[16:17], -v[210:211]
	v_mul_f64_e32 v[210:211], s[46:47], v[122:123]
	s_delay_alu instid0(VALU_DEP_4) | instskip(SKIP_2) | instid1(VALU_DEP_2)
	v_add_f64_e32 v[2:3], v[6:7], v[4:5]
	v_fma_f64 v[4:5], v[116:117], s[16:17], -v[212:213]
	v_mul_f64_e32 v[212:213], s[46:47], v[118:119]
	v_add_f64_e32 v[0:1], v[4:5], v[208:209]
	v_mul_f64_e32 v[4:5], s[42:43], v[110:111]
	scratch_store_b128 off, v[0:3], off offset:68 ; 16-byte Folded Spill
	v_add_f64_e32 v[0:1], v[66:67], v[64:65]
	v_fma_f64 v[64:65], v[74:75], s[18:19], v[140:141]
	v_fma_f64 v[66:67], v[76:77], s[18:19], -v[142:143]
	v_fma_f64 v[140:141], v[74:75], s[18:19], -v[140:141]
	v_fma_f64 v[142:143], v[76:77], s[18:19], v[142:143]
	v_add_f64_e32 v[2:3], v[10:11], v[8:9]
	v_mul_f64_e32 v[8:9], s[28:29], v[102:103]
	v_fma_f64 v[6:7], v[108:109], s[16:17], -v[4:5]
	v_fma_f64 v[4:5], v[108:109], s[16:17], v[4:5]
	v_add_f64_e32 v[64:65], v[64:65], v[148:149]
	v_add_f64_e32 v[66:67], v[66:67], v[176:177]
	;; [unrolled: 1-line block ×4, first 2 shown]
	scratch_store_b128 off, v[0:3], off offset:84 ; 16-byte Folded Spill
	v_mul_f64_e32 v[194:195], s[26:27], v[114:115]
	v_add_f64_e32 v[64:65], v[146:147], v[64:65]
	v_mul_f64_e32 v[146:147], s[42:43], v[90:91]
	v_add_f64_e32 v[140:141], v[144:145], v[140:141]
	s_delay_alu instid0(VALU_DEP_2) | instskip(SKIP_2) | instid1(VALU_DEP_3)
	v_fma_f64 v[148:149], v[72:73], s[16:17], -v[146:147]
	v_fma_f64 v[144:145], v[72:73], s[16:17], v[146:147]
	v_fma_f64 v[146:147], v[116:117], s[14:15], v[212:213]
	v_add_f64_e32 v[66:67], v[148:149], v[66:67]
	v_mul_f64_e32 v[148:149], s[50:51], v[94:95]
	s_delay_alu instid0(VALU_DEP_4) | instskip(NEXT) | instid1(VALU_DEP_2)
	v_add_f64_e32 v[142:143], v[144:145], v[142:143]
	v_fma_f64 v[172:173], v[92:93], s[10:11], v[148:149]
	v_fma_f64 v[144:145], v[92:93], s[10:11], -v[148:149]
	s_delay_alu instid0(VALU_DEP_2) | instskip(SKIP_1) | instid1(VALU_DEP_3)
	v_add_f64_e32 v[64:65], v[172:173], v[64:65]
	v_mul_f64_e32 v[172:173], s[50:51], v[86:87]
	v_add_f64_e32 v[140:141], v[144:145], v[140:141]
	s_delay_alu instid0(VALU_DEP_2) | instskip(SKIP_2) | instid1(VALU_DEP_3)
	v_fma_f64 v[174:175], v[82:83], s[10:11], -v[172:173]
	v_fma_f64 v[144:145], v[82:83], s[10:11], v[172:173]
	v_mul_f64_e32 v[172:173], s[52:53], v[128:129]
	v_add_f64_e32 v[66:67], v[174:175], v[66:67]
	v_mul_f64_e32 v[174:175], s[28:29], v[98:99]
	s_delay_alu instid0(VALU_DEP_4) | instskip(NEXT) | instid1(VALU_DEP_2)
	v_add_f64_e32 v[142:143], v[144:145], v[142:143]
	v_fma_f64 v[176:177], v[96:97], s[22:23], v[174:175]
	v_fma_f64 v[144:145], v[96:97], s[22:23], -v[174:175]
	v_mul_f64_e32 v[174:175], s[52:53], v[126:127]
	s_delay_alu instid0(VALU_DEP_3) | instskip(SKIP_1) | instid1(VALU_DEP_4)
	v_add_f64_e32 v[64:65], v[176:177], v[64:65]
	v_mul_f64_e32 v[176:177], s[28:29], v[114:115]
	v_add_f64_e32 v[140:141], v[144:145], v[140:141]
	s_delay_alu instid0(VALU_DEP_2) | instskip(SKIP_2) | instid1(VALU_DEP_3)
	v_fma_f64 v[188:189], v[80:81], s[22:23], -v[176:177]
	v_fma_f64 v[144:145], v[80:81], s[22:23], v[176:177]
	v_mul_f64_e32 v[176:177], s[28:29], v[88:89]
	v_add_f64_e32 v[66:67], v[188:189], v[66:67]
	v_mul_f64_e32 v[188:189], s[30:31], v[112:113]
	s_delay_alu instid0(VALU_DEP_4) | instskip(NEXT) | instid1(VALU_DEP_4)
	v_add_f64_e32 v[142:143], v[144:145], v[142:143]
	v_fma_f64 v[148:149], v[84:85], s[22:23], v[176:177]
	s_delay_alu instid0(VALU_DEP_3) | instskip(SKIP_2) | instid1(VALU_DEP_3)
	v_fma_f64 v[190:191], v[106:107], s[0:1], v[188:189]
	v_fma_f64 v[144:145], v[106:107], s[0:1], -v[188:189]
	v_mul_f64_e32 v[188:189], s[38:39], v[94:95]
	v_add_f64_e32 v[64:65], v[190:191], v[64:65]
	v_mul_f64_e32 v[190:191], s[30:31], v[102:103]
	s_delay_alu instid0(VALU_DEP_4) | instskip(NEXT) | instid1(VALU_DEP_2)
	v_add_f64_e32 v[140:141], v[144:145], v[140:141]
	v_fma_f64 v[192:193], v[100:101], s[0:1], -v[190:191]
	v_fma_f64 v[144:145], v[100:101], s[0:1], v[190:191]
	v_mul_f64_e32 v[190:191], s[38:39], v[86:87]
	s_delay_alu instid0(VALU_DEP_3) | instskip(SKIP_1) | instid1(VALU_DEP_4)
	v_add_f64_e32 v[66:67], v[192:193], v[66:67]
	v_mul_f64_e32 v[192:193], s[34:35], v[110:111]
	v_add_f64_e32 v[142:143], v[144:145], v[142:143]
	s_delay_alu instid0(VALU_DEP_2) | instskip(SKIP_2) | instid1(VALU_DEP_3)
	v_fma_f64 v[206:207], v[108:109], s[20:21], v[192:193]
	v_fma_f64 v[144:145], v[108:109], s[20:21], -v[192:193]
	v_mul_f64_e32 v[192:193], s[26:27], v[98:99]
	v_add_f64_e32 v[64:65], v[206:207], v[64:65]
	v_mul_f64_e32 v[206:207], s[34:35], v[124:125]
	s_delay_alu instid0(VALU_DEP_4) | instskip(NEXT) | instid1(VALU_DEP_2)
	v_add_f64_e32 v[140:141], v[144:145], v[140:141]
	v_fma_f64 v[208:209], v[104:105], s[20:21], -v[206:207]
	v_fma_f64 v[144:145], v[104:105], s[20:21], v[206:207]
	v_mul_f64_e32 v[206:207], s[48:49], v[112:113]
	s_delay_alu instid0(VALU_DEP_3) | instskip(SKIP_1) | instid1(VALU_DEP_4)
	v_add_f64_e32 v[208:209], v[208:209], v[66:67]
	v_fma_f64 v[66:67], v[120:121], s[14:15], v[210:211]
	v_add_f64_e32 v[144:145], v[144:145], v[142:143]
	v_fma_f64 v[142:143], v[120:121], s[14:15], -v[210:211]
	v_mul_f64_e32 v[210:211], s[30:31], v[110:111]
	s_delay_alu instid0(VALU_DEP_4) | instskip(SKIP_2) | instid1(VALU_DEP_2)
	v_add_f64_e32 v[2:3], v[66:67], v[64:65]
	v_fma_f64 v[64:65], v[116:117], s[14:15], -v[212:213]
	v_mul_f64_e32 v[212:213], s[30:31], v[124:125]
	v_add_f64_e32 v[0:1], v[64:65], v[208:209]
	v_mul_f64_e32 v[208:209], s[48:49], v[102:103]
	v_mul_f64_e32 v[64:65], s[44:45], v[110:111]
	s_mov_b32 s45, 0x3fc7851a
	s_mov_b32 s44, s30
	v_mul_f64_e32 v[102:103], s[26:27], v[102:103]
	s_wait_alu 0xfffe
	v_mul_f64_e32 v[52:53], s[44:45], v[90:91]
	v_mul_f64_e32 v[184:185], s[44:45], v[88:89]
	scratch_store_b128 off, v[0:3], off offset:132 ; 16-byte Folded Spill
	v_add_f64_e32 v[0:1], v[146:147], v[144:145]
	v_fma_f64 v[144:145], v[74:75], s[14:15], v[172:173]
	v_fma_f64 v[146:147], v[76:77], s[14:15], -v[174:175]
	v_add_f64_e32 v[2:3], v[142:143], v[140:141]
	v_mul_f64_e32 v[139:140], s[38:39], v[124:125]
	v_dual_mov_b32 v141, v242 :: v_dual_mov_b32 v242, v132
	v_mov_b32_e32 v132, v244
	v_mul_f64_e32 v[243:244], s[30:31], v[86:87]
	v_fma_f64 v[54:55], v[72:73], s[0:1], v[52:53]
	v_mul_f64_e32 v[142:143], s[34:35], v[114:115]
	v_add_f64_e32 v[144:145], v[144:145], v[150:151]
	v_add_f64_e32 v[146:147], v[146:147], v[178:179]
	v_mul_f64_e32 v[178:179], s[28:29], v[90:91]
	scratch_store_b128 off, v[0:3], off offset:180 ; 16-byte Folded Spill
	v_add_f64_e32 v[50:51], v[54:55], v[50:51]
	v_mul_f64_e32 v[54:55], s[52:53], v[94:95]
	v_add_f64_e32 v[144:145], v[148:149], v[144:145]
	v_fma_f64 v[148:149], v[72:73], s[22:23], -v[178:179]
	s_delay_alu instid0(VALU_DEP_4) | instskip(SKIP_1) | instid1(VALU_DEP_3)
	v_add_f64_e32 v[50:51], v[58:59], v[50:51]
	v_mul_f64_e32 v[58:59], s[34:35], v[98:99]
	v_add_f64_e32 v[146:147], v[148:149], v[146:147]
	v_fma_f64 v[148:149], v[92:93], s[2:3], v[188:189]
	s_delay_alu instid0(VALU_DEP_1) | instskip(SKIP_1) | instid1(VALU_DEP_1)
	v_add_f64_e32 v[144:145], v[148:149], v[144:145]
	v_fma_f64 v[148:149], v[82:83], s[2:3], -v[190:191]
	v_add_f64_e32 v[146:147], v[148:149], v[146:147]
	v_fma_f64 v[148:149], v[96:97], s[16:17], v[192:193]
	s_delay_alu instid0(VALU_DEP_1) | instskip(SKIP_1) | instid1(VALU_DEP_1)
	v_add_f64_e32 v[144:145], v[148:149], v[144:145]
	v_fma_f64 v[148:149], v[80:81], s[16:17], -v[194:195]
	;; [unrolled: 5-line block ×4, first 2 shown]
	v_add_f64_e32 v[148:149], v[148:149], v[146:147]
	v_fma_f64 v[146:147], v[120:121], s[18:19], v[36:37]
	s_delay_alu instid0(VALU_DEP_1) | instskip(SKIP_2) | instid1(VALU_DEP_2)
	v_add_f64_e32 v[2:3], v[146:147], v[144:145]
	v_fma_f64 v[144:145], v[116:117], s[18:19], -v[14:15]
	v_mul_f64_e32 v[146:147], s[28:29], v[112:113]
	v_add_f64_e32 v[0:1], v[144:145], v[148:149]
	v_mul_f64_e32 v[144:145], s[42:43], v[128:129]
	scratch_store_b128 off, v[0:3], off offset:212 ; 16-byte Folded Spill
	v_mul_f64_e32 v[0:1], s[48:49], v[128:129]
	v_mul_f64_e32 v[2:3], s[42:43], v[124:125]
	;; [unrolled: 1-line block ×3, first 2 shown]
	scratch_store_b64 off, v[0:1], off offset:244 ; 8-byte Folded Spill
	v_fma_f64 v[148:149], v[74:75], s[20:21], -v[0:1]
	v_mul_f64_e32 v[0:1], s[48:49], v[126:127]
	v_fma_f64 v[10:11], v[104:105], s[16:17], v[2:3]
	v_fma_f64 v[2:3], v[104:105], s[16:17], -v[2:3]
	s_delay_alu instid0(VALU_DEP_4) | instskip(SKIP_3) | instid1(VALU_DEP_2)
	v_add_f64_e32 v[148:149], v[148:149], v[154:155]
	scratch_store_b64 off, v[0:1], off offset:252 ; 8-byte Folded Spill
	v_fma_f64 v[150:151], v[76:77], s[20:21], v[0:1]
	v_mul_f64_e32 v[0:1], s[36:37], v[88:89]
	v_add_f64_e32 v[150:151], v[150:151], v[158:159]
	scratch_store_b64 off, v[0:1], off offset:260 ; 8-byte Folded Spill
	v_fma_f64 v[154:155], v[84:85], s[18:19], -v[0:1]
	v_mul_f64_e32 v[0:1], s[36:37], v[90:91]
	v_fma_f64 v[158:159], v[84:85], s[10:11], -v[78:79]
	v_mul_f64_e32 v[90:91], s[34:35], v[90:91]
	s_delay_alu instid0(VALU_DEP_4) | instskip(SKIP_4) | instid1(VALU_DEP_3)
	v_add_f64_e32 v[148:149], v[154:155], v[148:149]
	scratch_store_b64 off, v[0:1], off offset:268 ; 8-byte Folded Spill
	v_fma_f64 v[154:155], v[72:73], s[18:19], v[0:1]
	v_mul_f64_e32 v[0:1], s[42:43], v[94:95]
	v_mul_f64_e32 v[94:95], s[36:37], v[94:95]
	v_add_f64_e32 v[150:151], v[154:155], v[150:151]
	scratch_store_b64 off, v[0:1], off offset:276 ; 8-byte Folded Spill
	v_fma_f64 v[154:155], v[92:93], s[16:17], -v[0:1]
	v_mul_f64_e32 v[0:1], s[42:43], v[86:87]
	s_delay_alu instid0(VALU_DEP_2)
	v_add_f64_e32 v[148:149], v[154:155], v[148:149]
	scratch_store_b64 off, v[0:1], off offset:284 ; 8-byte Folded Spill
	v_fma_f64 v[154:155], v[82:83], s[16:17], v[0:1]
	v_mul_f64_e32 v[0:1], s[46:47], v[98:99]
	s_mov_b32 s47, 0x3fe0d888
	s_mov_b32 s46, s38
	s_wait_alu 0xfffe
	v_mul_f64_e32 v[70:71], s[46:47], v[98:99]
	v_mul_f64_e32 v[68:69], s[46:47], v[114:115]
	v_mul_f64_e32 v[98:99], s[30:31], v[98:99]
	v_mul_f64_e32 v[114:115], s[30:31], v[114:115]
	v_add_f64_e32 v[150:151], v[154:155], v[150:151]
	v_fma_f64 v[154:155], v[96:97], s[14:15], -v[0:1]
	scratch_store_b64 off, v[0:1], off offset:292 ; 8-byte Folded Spill
	v_mul_f64_e32 v[0:1], s[38:39], v[110:111]
	v_fma_f64 v[110:111], v[108:109], s[22:23], -v[236:237]
	v_add_f64_e32 v[148:149], v[154:155], v[148:149]
	v_fma_f64 v[154:155], v[80:81], s[14:15], v[196:197]
	scratch_store_b64 off, v[0:1], off offset:300 ; 8-byte Folded Spill
	v_add_f64_e32 v[150:151], v[154:155], v[150:151]
	v_fma_f64 v[154:155], v[106:107], s[10:11], -v[186:187]
	s_delay_alu instid0(VALU_DEP_1) | instskip(SKIP_1) | instid1(VALU_DEP_1)
	v_add_f64_e32 v[148:149], v[154:155], v[148:149]
	v_fma_f64 v[154:155], v[100:101], s[10:11], v[180:181]
	v_add_f64_e32 v[150:151], v[154:155], v[150:151]
	v_fma_f64 v[154:155], v[108:109], s[2:3], -v[0:1]
	v_mul_f64_e32 v[0:1], s[30:31], v[122:123]
	s_delay_alu instid0(VALU_DEP_2)
	v_add_f64_e32 v[148:149], v[154:155], v[148:149]
	v_fma_f64 v[154:155], v[104:105], s[2:3], v[139:140]
	scratch_store_b64 off, v[0:1], off offset:308 ; 8-byte Folded Spill
	v_add_f64_e32 v[154:155], v[154:155], v[150:151]
	v_fma_f64 v[150:151], v[120:121], s[0:1], -v[0:1]
	v_mul_f64_e32 v[0:1], s[30:31], v[126:127]
	v_mul_f64_e32 v[126:127], s[46:47], v[126:127]
	s_delay_alu instid0(VALU_DEP_3) | instskip(SKIP_1) | instid1(VALU_DEP_4)
	v_add_f64_e32 v[150:151], v[150:151], v[148:149]
	v_fma_f64 v[148:149], v[116:117], s[0:1], v[130:131]
	v_fma_f64 v[66:67], v[76:77], s[0:1], v[0:1]
	v_fma_f64 v[0:1], v[76:77], s[0:1], -v[0:1]
	s_delay_alu instid0(VALU_DEP_3) | instskip(SKIP_1) | instid1(VALU_DEP_4)
	v_add_f64_e32 v[148:149], v[148:149], v[154:155]
	v_fma_f64 v[154:155], v[74:75], s[16:17], -v[144:145]
	v_add_f64_e32 v[66:67], v[66:67], v[168:169]
	v_mul_f64_e32 v[168:169], s[52:53], v[88:89]
	s_delay_alu instid0(VALU_DEP_3) | instskip(SKIP_1) | instid1(VALU_DEP_2)
	v_add_f64_e32 v[152:153], v[154:155], v[152:153]
	v_fma_f64 v[154:155], v[76:77], s[16:17], v[253:254]
	v_add_f64_e32 v[152:153], v[158:159], v[152:153]
	s_delay_alu instid0(VALU_DEP_2) | instskip(SKIP_1) | instid1(VALU_DEP_1)
	v_add_f64_e32 v[154:155], v[154:155], v[160:161]
	v_fma_f64 v[158:159], v[72:73], s[10:11], v[135:136]
	v_add_f64_e32 v[154:155], v[158:159], v[154:155]
	v_fma_f64 v[158:159], v[92:93], s[0:1], -v[137:138]
	s_delay_alu instid0(VALU_DEP_1) | instskip(SKIP_1) | instid1(VALU_DEP_1)
	v_add_f64_e32 v[152:153], v[158:159], v[152:153]
	v_fma_f64 v[158:159], v[82:83], s[0:1], v[243:244]
	v_add_f64_e32 v[154:155], v[158:159], v[154:155]
	v_fma_f64 v[158:159], v[96:97], s[2:3], -v[70:71]
	s_delay_alu instid0(VALU_DEP_1) | instskip(SKIP_1) | instid1(VALU_DEP_1)
	;; [unrolled: 5-line block ×3, first 2 shown]
	v_add_f64_e32 v[152:153], v[158:159], v[152:153]
	v_fma_f64 v[158:159], v[100:101], s[14:15], v[170:171]
	v_add_f64_e32 v[154:155], v[158:159], v[154:155]
	v_fma_f64 v[158:159], v[108:109], s[18:19], -v[64:65]
	s_delay_alu instid0(VALU_DEP_2) | instskip(NEXT) | instid1(VALU_DEP_2)
	v_add_f64_e32 v[42:43], v[42:43], v[154:155]
	v_add_f64_e32 v[152:153], v[158:159], v[152:153]
	s_delay_alu instid0(VALU_DEP_1) | instskip(SKIP_1) | instid1(VALU_DEP_1)
	v_add_f64_e32 v[154:155], v[46:47], v[152:153]
	v_mul_f64_e32 v[46:47], s[40:41], v[118:119]
	v_fma_f64 v[152:153], v[116:117], s[22:23], v[46:47]
	s_delay_alu instid0(VALU_DEP_1) | instskip(SKIP_1) | instid1(VALU_DEP_1)
	v_add_f64_e32 v[152:153], v[152:153], v[42:43]
	v_mul_f64_e32 v[42:43], s[24:25], v[128:129]
	v_fma_f64 v[158:159], v[74:75], s[10:11], -v[42:43]
	s_delay_alu instid0(VALU_DEP_1) | instskip(SKIP_1) | instid1(VALU_DEP_1)
	v_add_f64_e32 v[156:157], v[158:159], v[156:157]
	v_fma_f64 v[158:159], v[84:85], s[0:1], -v[184:185]
	v_add_f64_e32 v[156:157], v[158:159], v[156:157]
	v_fma_f64 v[158:159], v[92:93], s[14:15], -v[54:55]
	s_delay_alu instid0(VALU_DEP_1) | instskip(SKIP_1) | instid1(VALU_DEP_1)
	v_add_f64_e32 v[156:157], v[158:159], v[156:157]
	v_fma_f64 v[158:159], v[96:97], s[20:21], -v[58:59]
	v_add_f64_e32 v[156:157], v[158:159], v[156:157]
	v_fma_f64 v[158:159], v[80:81], s[20:21], v[142:143]
	s_delay_alu instid0(VALU_DEP_1) | instskip(SKIP_1) | instid1(VALU_DEP_1)
	v_add_f64_e32 v[50:51], v[158:159], v[50:51]
	v_fma_f64 v[158:159], v[106:107], s[22:23], -v[146:147]
	v_add_f64_e32 v[156:157], v[158:159], v[156:157]
	v_fma_f64 v[158:159], v[100:101], s[22:23], v[8:9]
	s_delay_alu instid0(VALU_DEP_2) | instskip(NEXT) | instid1(VALU_DEP_2)
	v_add_f64_e32 v[6:7], v[6:7], v[156:157]
	v_add_f64_e32 v[50:51], v[158:159], v[50:51]
	s_delay_alu instid0(VALU_DEP_1) | instskip(SKIP_2) | instid1(VALU_DEP_2)
	v_add_f64_e32 v[10:11], v[10:11], v[50:51]
	v_mul_f64_e32 v[50:51], s[38:39], v[122:123]
	v_mul_f64_e32 v[122:123], s[24:25], v[122:123]
	v_fma_f64 v[156:157], v[120:121], s[2:3], -v[50:51]
	s_delay_alu instid0(VALU_DEP_1) | instskip(SKIP_1) | instid1(VALU_DEP_1)
	v_add_f64_e32 v[158:159], v[156:157], v[6:7]
	v_mul_f64_e32 v[6:7], s[38:39], v[118:119]
	v_fma_f64 v[156:157], v[116:117], s[2:3], v[6:7]
	v_fma_f64 v[6:7], v[116:117], s[2:3], -v[6:7]
	s_delay_alu instid0(VALU_DEP_2) | instskip(SKIP_1) | instid1(VALU_DEP_1)
	v_add_f64_e32 v[156:157], v[156:157], v[10:11]
	v_mul_f64_e32 v[10:11], s[30:31], v[128:129]
	v_fma_f64 v[160:161], v[74:75], s[0:1], -v[10:11]
	v_fma_f64 v[10:11], v[74:75], s[0:1], v[10:11]
	s_delay_alu instid0(VALU_DEP_2) | instskip(SKIP_1) | instid1(VALU_DEP_1)
	v_add_f64_e32 v[38:39], v[160:161], v[38:39]
	v_fma_f64 v[160:161], v[84:85], s[14:15], -v[168:169]
	v_add_f64_e32 v[38:39], v[160:161], v[38:39]
	v_fma_f64 v[160:161], v[72:73], s[14:15], v[12:13]
	v_fma_f64 v[12:13], v[72:73], s[14:15], -v[12:13]
	s_delay_alu instid0(VALU_DEP_2) | instskip(SKIP_1) | instid1(VALU_DEP_1)
	v_add_f64_e32 v[66:67], v[160:161], v[66:67]
	v_fma_f64 v[160:161], v[92:93], s[22:23], -v[245:246]
	v_add_f64_e32 v[38:39], v[160:161], v[38:39]
	v_fma_f64 v[160:161], v[82:83], s[22:23], v[247:248]
	s_delay_alu instid0(VALU_DEP_1) | instskip(SKIP_1) | instid1(VALU_DEP_1)
	v_add_f64_e32 v[66:67], v[160:161], v[66:67]
	v_fma_f64 v[160:161], v[96:97], s[18:19], -v[226:227]
	v_add_f64_e32 v[38:39], v[160:161], v[38:39]
	v_fma_f64 v[160:161], v[80:81], s[18:19], v[228:229]
	s_delay_alu instid0(VALU_DEP_1) | instskip(SKIP_1) | instid1(VALU_DEP_1)
	;; [unrolled: 5-line block ×4, first 2 shown]
	v_add_f64_e32 v[66:67], v[160:161], v[66:67]
	v_fma_f64 v[160:161], v[120:121], s[20:21], -v[234:235]
	v_add_f64_e32 v[162:163], v[160:161], v[38:39]
	v_mul_f64_e32 v[38:39], s[34:35], v[118:119]
	v_mul_f64_e32 v[118:119], s[24:25], v[118:119]
	s_delay_alu instid0(VALU_DEP_2) | instskip(SKIP_1) | instid1(VALU_DEP_2)
	v_fma_f64 v[160:161], v[116:117], s[20:21], v[38:39]
	v_fma_f64 v[38:39], v[116:117], s[20:21], -v[38:39]
	v_add_f64_e32 v[160:161], v[160:161], v[66:67]
	v_mul_f64_e32 v[66:67], s[46:47], v[128:129]
	s_delay_alu instid0(VALU_DEP_1) | instskip(SKIP_1) | instid1(VALU_DEP_2)
	v_fma_f64 v[128:129], v[74:75], s[2:3], -v[66:67]
	v_fma_f64 v[66:67], v[74:75], s[2:3], v[66:67]
	v_add_f64_e32 v[128:129], v[128:129], v[164:165]
	v_fma_f64 v[164:165], v[76:77], s[2:3], v[126:127]
	v_fma_f64 v[126:127], v[76:77], s[2:3], -v[126:127]
	s_delay_alu instid0(VALU_DEP_2) | instskip(SKIP_1) | instid1(VALU_DEP_1)
	v_add_f64_e32 v[164:165], v[164:165], v[166:167]
	v_mul_f64_e32 v[166:167], s[34:35], v[88:89]
	v_fma_f64 v[88:89], v[84:85], s[20:21], -v[166:167]
	v_fma_f64 v[166:167], v[84:85], s[20:21], v[166:167]
	s_delay_alu instid0(VALU_DEP_2) | instskip(SKIP_2) | instid1(VALU_DEP_2)
	v_add_f64_e32 v[88:89], v[88:89], v[128:129]
	v_fma_f64 v[128:129], v[72:73], s[20:21], v[90:91]
	v_fma_f64 v[90:91], v[72:73], s[20:21], -v[90:91]
	v_add_f64_e32 v[128:129], v[128:129], v[164:165]
	v_fma_f64 v[164:165], v[92:93], s[18:19], -v[94:95]
	v_fma_f64 v[94:95], v[92:93], s[18:19], v[94:95]
	s_delay_alu instid0(VALU_DEP_2) | instskip(SKIP_1) | instid1(VALU_DEP_1)
	v_add_f64_e32 v[88:89], v[164:165], v[88:89]
	v_mul_f64_e32 v[164:165], s[36:37], v[86:87]
	v_fma_f64 v[86:87], v[82:83], s[18:19], v[164:165]
	s_delay_alu instid0(VALU_DEP_1) | instskip(SKIP_1) | instid1(VALU_DEP_1)
	v_add_f64_e32 v[86:87], v[86:87], v[128:129]
	v_fma_f64 v[128:129], v[96:97], s[0:1], -v[98:99]
	v_add_f64_e32 v[88:89], v[128:129], v[88:89]
	v_fma_f64 v[128:129], v[80:81], s[0:1], v[114:115]
	s_delay_alu instid0(VALU_DEP_1) | instskip(SKIP_1) | instid1(VALU_DEP_1)
	v_add_f64_e32 v[86:87], v[128:129], v[86:87]
	v_mul_f64_e32 v[128:129], s[26:27], v[112:113]
	v_fma_f64 v[112:113], v[106:107], s[16:17], -v[128:129]
	s_delay_alu instid0(VALU_DEP_1) | instskip(SKIP_1) | instid1(VALU_DEP_2)
	v_add_f64_e32 v[88:89], v[112:113], v[88:89]
	v_fma_f64 v[112:113], v[100:101], s[16:17], v[102:103]
	v_add_f64_e32 v[88:89], v[110:111], v[88:89]
	s_delay_alu instid0(VALU_DEP_2) | instskip(SKIP_2) | instid1(VALU_DEP_1)
	v_add_f64_e32 v[86:87], v[112:113], v[86:87]
	scratch_load_b64 v[112:113], off, off offset:236 th:TH_LOAD_LU ; 8-byte Folded Reload
	v_fma_f64 v[110:111], v[104:105], s[22:23], v[124:125]
	v_add_f64_e32 v[86:87], v[110:111], v[86:87]
	v_fma_f64 v[110:111], v[120:121], s[10:11], -v[122:123]
	s_delay_alu instid0(VALU_DEP_1) | instskip(SKIP_1) | instid1(VALU_DEP_1)
	v_add_f64_e32 v[88:89], v[110:111], v[88:89]
	v_fma_f64 v[110:111], v[116:117], s[10:11], v[118:119]
	v_add_f64_e32 v[86:87], v[110:111], v[86:87]
	v_fma_f64 v[110:111], v[74:75], s[14:15], -v[172:173]
	scratch_load_b64 v[172:173], off, off offset:228 th:TH_LOAD_LU ; 8-byte Folded Reload
	s_wait_loadcnt 0x1
	v_add_f64_e32 v[110:111], v[110:111], v[112:113]
	v_fma_f64 v[112:113], v[76:77], s[14:15], v[174:175]
	v_fma_f64 v[174:175], v[116:117], s[18:19], v[14:15]
	scratch_load_b64 v[14:15], off, off offset:204 th:TH_LOAD_LU ; 8-byte Folded Reload
	s_wait_loadcnt 0x0
	v_add_f64_e32 v[66:67], v[66:67], v[14:15]
	scratch_load_b64 v[14:15], off, off offset:196 th:TH_LOAD_LU ; 8-byte Folded Reload
	v_add_f64_e32 v[66:67], v[166:167], v[66:67]
	s_delay_alu instid0(VALU_DEP_1)
	v_add_f64_e32 v[66:67], v[94:95], v[66:67]
	v_fma_f64 v[94:95], v[82:83], s[18:19], -v[164:165]
	s_wait_loadcnt 0x0
	v_add_f64_e32 v[126:127], v[126:127], v[14:15]
	scratch_load_b64 v[14:15], off, off offset:172 th:TH_LOAD_LU ; 8-byte Folded Reload
	v_add_f64_e32 v[90:91], v[90:91], v[126:127]
	s_delay_alu instid0(VALU_DEP_1) | instskip(SKIP_2) | instid1(VALU_DEP_2)
	v_add_f64_e32 v[90:91], v[94:95], v[90:91]
	v_fma_f64 v[94:95], v[96:97], s[0:1], v[98:99]
	v_fma_f64 v[98:99], v[116:117], s[10:11], -v[118:119]
	v_add_f64_e32 v[66:67], v[94:95], v[66:67]
	v_fma_f64 v[94:95], v[80:81], s[0:1], -v[114:115]
	s_delay_alu instid0(VALU_DEP_1) | instskip(SKIP_1) | instid1(VALU_DEP_1)
	v_add_f64_e32 v[90:91], v[94:95], v[90:91]
	v_fma_f64 v[94:95], v[106:107], s[16:17], v[128:129]
	v_add_f64_e32 v[66:67], v[94:95], v[66:67]
	v_fma_f64 v[94:95], v[100:101], s[16:17], -v[102:103]
	s_delay_alu instid0(VALU_DEP_1) | instskip(SKIP_1) | instid1(VALU_DEP_1)
	v_add_f64_e32 v[90:91], v[94:95], v[90:91]
	v_fma_f64 v[94:95], v[108:109], s[22:23], v[236:237]
	v_add_f64_e32 v[66:67], v[94:95], v[66:67]
	v_fma_f64 v[94:95], v[104:105], s[22:23], -v[124:125]
	s_delay_alu instid0(VALU_DEP_1)
	v_add_f64_e32 v[90:91], v[94:95], v[90:91]
	v_fma_f64 v[94:95], v[120:121], s[10:11], v[122:123]
	s_wait_loadcnt 0x0
	v_add_f64_e32 v[10:11], v[10:11], v[14:15]
	scratch_load_b64 v[14:15], off, off offset:164 th:TH_LOAD_LU ; 8-byte Folded Reload
	v_add_f64_e32 v[122:123], v[98:99], v[90:91]
	v_add_f64_e32 v[124:125], v[94:95], v[66:67]
	v_fma_f64 v[66:67], v[84:85], s[14:15], v[168:169]
	s_delay_alu instid0(VALU_DEP_1) | instskip(SKIP_1) | instid1(VALU_DEP_1)
	v_add_f64_e32 v[10:11], v[66:67], v[10:11]
	v_fma_f64 v[66:67], v[92:93], s[22:23], v[245:246]
	v_add_f64_e32 v[10:11], v[66:67], v[10:11]
	v_fma_f64 v[66:67], v[96:97], s[18:19], v[226:227]
	s_delay_alu instid0(VALU_DEP_1) | instskip(SKIP_1) | instid1(VALU_DEP_1)
	v_add_f64_e32 v[10:11], v[66:67], v[10:11]
	v_fma_f64 v[66:67], v[106:107], s[2:3], v[182:183]
	v_add_f64_e32 v[10:11], v[66:67], v[10:11]
	s_wait_loadcnt 0x0
	v_add_f64_e32 v[0:1], v[0:1], v[14:15]
	s_delay_alu instid0(VALU_DEP_1) | instskip(SKIP_1) | instid1(VALU_DEP_1)
	v_add_f64_e32 v[0:1], v[12:13], v[0:1]
	v_fma_f64 v[12:13], v[82:83], s[22:23], -v[247:248]
	v_add_f64_e32 v[0:1], v[12:13], v[0:1]
	v_fma_f64 v[12:13], v[80:81], s[18:19], -v[228:229]
	s_delay_alu instid0(VALU_DEP_1) | instskip(SKIP_1) | instid1(VALU_DEP_1)
	v_add_f64_e32 v[0:1], v[12:13], v[0:1]
	v_fma_f64 v[12:13], v[100:101], s[2:3], -v[230:231]
	v_add_f64_e32 v[0:1], v[12:13], v[0:1]
	v_fma_f64 v[12:13], v[108:109], s[10:11], v[232:233]
	s_delay_alu instid0(VALU_DEP_1) | instskip(SKIP_1) | instid1(VALU_DEP_1)
	v_add_f64_e32 v[10:11], v[12:13], v[10:11]
	v_fma_f64 v[12:13], v[104:105], s[10:11], -v[198:199]
	v_add_f64_e32 v[0:1], v[12:13], v[0:1]
	v_fma_f64 v[12:13], v[120:121], s[20:21], v[234:235]
	s_delay_alu instid0(VALU_DEP_2) | instskip(NEXT) | instid1(VALU_DEP_2)
	v_add_f64_e32 v[126:127], v[38:39], v[0:1]
	v_add_f64_e32 v[128:129], v[12:13], v[10:11]
	s_clause 0x1
	scratch_load_b64 v[10:11], off, off offset:156 th:TH_LOAD_LU
	scratch_load_b64 v[12:13], off, off offset:148 th:TH_LOAD_LU
	v_fma_f64 v[0:1], v[74:75], s[10:11], v[42:43]
	s_wait_loadcnt 0x1
	s_delay_alu instid0(VALU_DEP_1) | instskip(SKIP_2) | instid1(VALU_DEP_1)
	v_add_f64_e32 v[0:1], v[0:1], v[10:11]
	v_fma_f64 v[10:11], v[76:77], s[10:11], -v[48:49]
	s_wait_loadcnt 0x0
	v_add_f64_e32 v[10:11], v[10:11], v[12:13]
	v_fma_f64 v[12:13], v[84:85], s[0:1], v[184:185]
	s_delay_alu instid0(VALU_DEP_1) | instskip(SKIP_1) | instid1(VALU_DEP_1)
	v_add_f64_e32 v[0:1], v[12:13], v[0:1]
	v_fma_f64 v[12:13], v[72:73], s[0:1], -v[52:53]
	v_add_f64_e32 v[10:11], v[12:13], v[10:11]
	v_fma_f64 v[12:13], v[92:93], s[14:15], v[54:55]
	s_delay_alu instid0(VALU_DEP_1) | instskip(SKIP_1) | instid1(VALU_DEP_1)
	v_add_f64_e32 v[0:1], v[12:13], v[0:1]
	v_fma_f64 v[12:13], v[82:83], s[14:15], -v[56:57]
	;; [unrolled: 5-line block ×3, first 2 shown]
	v_add_f64_e32 v[10:11], v[12:13], v[10:11]
	v_fma_f64 v[12:13], v[106:107], s[22:23], v[146:147]
	s_delay_alu instid0(VALU_DEP_1)
	v_add_f64_e32 v[0:1], v[12:13], v[0:1]
	v_fma_f64 v[12:13], v[100:101], s[22:23], -v[8:9]
	scratch_load_b64 v[8:9], off, off offset:100 th:TH_LOAD_LU ; 8-byte Folded Reload
	v_add_f64_e32 v[0:1], v[4:5], v[0:1]
	v_add_f64_e32 v[10:11], v[12:13], v[10:11]
	v_fma_f64 v[4:5], v[120:121], s[2:3], v[50:51]
	s_delay_alu instid0(VALU_DEP_2) | instskip(NEXT) | instid1(VALU_DEP_2)
	v_add_f64_e32 v[2:3], v[2:3], v[10:11]
	v_add_f64_e32 v[166:167], v[4:5], v[0:1]
	scratch_load_b64 v[4:5], off, off offset:116 th:TH_LOAD_LU ; 8-byte Folded Reload
	v_fma_f64 v[0:1], v[74:75], s[16:17], v[144:145]
	v_add_f64_e32 v[164:165], v[6:7], v[2:3]
	scratch_load_b64 v[2:3], off, off offset:124 th:TH_LOAD_LU ; 8-byte Folded Reload
	v_fma_f64 v[6:7], v[116:117], s[22:23], -v[46:47]
	s_wait_loadcnt 0x0
	v_add_f64_e32 v[0:1], v[0:1], v[2:3]
	v_fma_f64 v[2:3], v[76:77], s[16:17], -v[253:254]
	s_delay_alu instid0(VALU_DEP_1) | instskip(SKIP_1) | instid1(VALU_DEP_1)
	v_add_f64_e32 v[2:3], v[2:3], v[4:5]
	v_fma_f64 v[4:5], v[84:85], s[10:11], v[78:79]
	v_add_f64_e32 v[0:1], v[4:5], v[0:1]
	v_fma_f64 v[4:5], v[72:73], s[10:11], -v[135:136]
	s_delay_alu instid0(VALU_DEP_1) | instskip(SKIP_1) | instid1(VALU_DEP_1)
	v_add_f64_e32 v[2:3], v[4:5], v[2:3]
	v_fma_f64 v[4:5], v[92:93], s[0:1], v[137:138]
	v_add_f64_e32 v[0:1], v[4:5], v[0:1]
	v_fma_f64 v[4:5], v[82:83], s[0:1], -v[243:244]
	v_dual_mov_b32 v244, v132 :: v_dual_mov_b32 v243, v255
	v_mov_b32_e32 v132, v242
	v_mov_b32_e32 v242, v141
	s_delay_alu instid0(VALU_DEP_4) | instskip(SKIP_1) | instid1(VALU_DEP_1)
	v_add_f64_e32 v[2:3], v[4:5], v[2:3]
	v_fma_f64 v[4:5], v[96:97], s[2:3], v[70:71]
	v_add_f64_e32 v[0:1], v[4:5], v[0:1]
	v_fma_f64 v[4:5], v[80:81], s[2:3], -v[68:69]
	s_delay_alu instid0(VALU_DEP_1) | instskip(SKIP_4) | instid1(VALU_DEP_4)
	v_add_f64_e32 v[2:3], v[4:5], v[2:3]
	v_fma_f64 v[4:5], v[106:107], s[14:15], v[200:201]
	v_mov_b32_e32 v201, v63
	v_dual_mov_b32 v199, v61 :: v_dual_mov_b32 v200, v62
	v_mov_b32_e32 v198, v60
	v_add_f64_e32 v[0:1], v[4:5], v[0:1]
	v_fma_f64 v[4:5], v[100:101], s[14:15], -v[170:171]
	s_delay_alu instid0(VALU_DEP_1) | instskip(SKIP_1) | instid1(VALU_DEP_1)
	v_add_f64_e32 v[2:3], v[4:5], v[2:3]
	v_fma_f64 v[4:5], v[108:109], s[18:19], v[64:65]
	v_add_f64_e32 v[0:1], v[4:5], v[0:1]
	v_fma_f64 v[4:5], v[104:105], s[18:19], -v[40:41]
	s_delay_alu instid0(VALU_DEP_1) | instskip(SKIP_1) | instid1(VALU_DEP_2)
	v_add_f64_e32 v[2:3], v[4:5], v[2:3]
	v_fma_f64 v[4:5], v[120:121], s[22:23], v[44:45]
	v_add_f64_e32 v[168:169], v[6:7], v[2:3]
	s_delay_alu instid0(VALU_DEP_2)
	v_add_f64_e32 v[170:171], v[4:5], v[0:1]
	s_clause 0x3
	scratch_load_b64 v[0:1], off, off offset:244 th:TH_LOAD_LU
	scratch_load_b64 v[2:3], off, off offset:252 th:TH_LOAD_LU
	;; [unrolled: 1-line block ×4, first 2 shown]
	v_add_f64_e32 v[112:113], v[112:113], v[172:173]
	v_fma_f64 v[172:173], v[84:85], s[22:23], -v[176:177]
	s_delay_alu instid0(VALU_DEP_1) | instskip(SKIP_1) | instid1(VALU_DEP_1)
	v_add_f64_e32 v[110:111], v[172:173], v[110:111]
	v_fma_f64 v[172:173], v[72:73], s[22:23], v[178:179]
	v_add_f64_e32 v[112:113], v[172:173], v[112:113]
	v_fma_f64 v[172:173], v[92:93], s[2:3], -v[188:189]
	s_delay_alu instid0(VALU_DEP_1) | instskip(SKIP_1) | instid1(VALU_DEP_1)
	v_add_f64_e32 v[110:111], v[172:173], v[110:111]
	v_fma_f64 v[172:173], v[82:83], s[2:3], v[190:191]
	;; [unrolled: 5-line block ×3, first 2 shown]
	v_add_f64_e32 v[112:113], v[172:173], v[112:113]
	v_fma_f64 v[172:173], v[106:107], s[20:21], -v[206:207]
	s_delay_alu instid0(VALU_DEP_1)
	v_add_f64_e32 v[110:111], v[172:173], v[110:111]
	v_fma_f64 v[172:173], v[100:101], s[20:21], v[208:209]
	scratch_load_b128 v[206:209], off, off offset:12 ; 16-byte Folded Reload
	v_add_f64_e32 v[112:113], v[172:173], v[112:113]
	v_fma_f64 v[172:173], v[108:109], s[0:1], -v[210:211]
	s_wait_loadcnt 0x4
	v_fma_f64 v[0:1], v[74:75], s[20:21], v[0:1]
	s_wait_loadcnt 0x3
	v_fma_f64 v[2:3], v[76:77], s[20:21], -v[2:3]
	s_wait_loadcnt 0x2
	v_fma_f64 v[4:5], v[84:85], s[18:19], v[4:5]
	s_delay_alu instid0(VALU_DEP_4)
	v_add_f64_e32 v[110:111], v[172:173], v[110:111]
	v_fma_f64 v[172:173], v[104:105], s[0:1], v[212:213]
	s_wait_loadcnt 0x1
	v_add_f64_e32 v[0:1], v[0:1], v[6:7]
	scratch_load_b64 v[6:7], off, off offset:268 th:TH_LOAD_LU ; 8-byte Folded Reload
	v_add_f64_e32 v[2:3], v[2:3], v[8:9]
	scratch_load_b64 v[8:9], off, off offset:276 th:TH_LOAD_LU ; 8-byte Folded Reload
	v_add_f64_e32 v[172:173], v[172:173], v[112:113]
	v_fma_f64 v[112:113], v[120:121], s[18:19], -v[36:37]
	v_add_f64_e32 v[0:1], v[4:5], v[0:1]
	scratch_load_b64 v[4:5], off, off offset:284 th:TH_LOAD_LU ; 8-byte Folded Reload
	v_add_f64_e32 v[112:113], v[112:113], v[110:111]
	v_add_f64_e32 v[110:111], v[174:175], v[172:173]
	s_wait_loadcnt 0x2
	v_fma_f64 v[6:7], v[72:73], s[18:19], -v[6:7]
	s_wait_loadcnt 0x1
	v_fma_f64 v[8:9], v[92:93], s[16:17], v[8:9]
	s_delay_alu instid0(VALU_DEP_2)
	v_add_f64_e32 v[2:3], v[6:7], v[2:3]
	scratch_load_b64 v[6:7], off, off offset:292 th:TH_LOAD_LU ; 8-byte Folded Reload
	s_wait_loadcnt 0x1
	v_fma_f64 v[4:5], v[82:83], s[16:17], -v[4:5]
	v_add_f64_e32 v[0:1], v[8:9], v[0:1]
	v_fma_f64 v[8:9], v[80:81], s[14:15], -v[196:197]
	s_delay_alu instid0(VALU_DEP_3) | instskip(SKIP_1) | instid1(VALU_DEP_2)
	v_add_f64_e32 v[2:3], v[4:5], v[2:3]
	v_fma_f64 v[4:5], v[106:107], s[10:11], v[186:187]
	v_add_f64_e32 v[2:3], v[8:9], v[2:3]
	scratch_load_b64 v[8:9], off, off offset:300 th:TH_LOAD_LU ; 8-byte Folded Reload
	s_wait_loadcnt 0x1
	v_fma_f64 v[6:7], v[96:97], s[14:15], v[6:7]
	s_delay_alu instid0(VALU_DEP_1) | instskip(SKIP_1) | instid1(VALU_DEP_2)
	v_add_f64_e32 v[0:1], v[6:7], v[0:1]
	v_fma_f64 v[6:7], v[100:101], s[10:11], -v[180:181]
	v_add_f64_e32 v[0:1], v[4:5], v[0:1]
	s_delay_alu instid0(VALU_DEP_2) | instskip(SKIP_4) | instid1(VALU_DEP_2)
	v_add_f64_e32 v[2:3], v[6:7], v[2:3]
	scratch_load_b64 v[6:7], off, off offset:308 th:TH_LOAD_LU ; 8-byte Folded Reload
	v_fma_f64 v[4:5], v[104:105], s[2:3], -v[139:140]
	s_wait_loadcnt 0x1
	v_fma_f64 v[8:9], v[108:109], s[2:3], v[8:9]
	v_add_f64_e32 v[2:3], v[4:5], v[2:3]
	s_delay_alu instid0(VALU_DEP_2) | instskip(SKIP_1) | instid1(VALU_DEP_1)
	v_add_f64_e32 v[0:1], v[8:9], v[0:1]
	v_fma_f64 v[8:9], v[116:117], s[0:1], -v[130:131]
	v_add_f64_e32 v[68:69], v[8:9], v[2:3]
	s_wait_loadcnt 0x0
	v_fma_f64 v[6:7], v[120:121], s[0:1], v[6:7]
	s_clause 0x1
	scratch_load_b32 v121, off, off offset:36
	scratch_load_b32 v120, off, off offset:28
	v_add_f64_e32 v[70:71], v[6:7], v[0:1]
	scratch_load_b32 v1, off, off offset:316 th:TH_LOAD_LU ; 4-byte Folded Reload
	v_mul_lo_u16 v0, v244, 17
	s_delay_alu instid0(VALU_DEP_1) | instskip(SKIP_1) | instid1(VALU_DEP_1)
	v_and_b32_e32 v0, 0xffff, v0
	s_wait_loadcnt 0x0
	v_lshl_add_u32 v0, v0, 4, v1
	scratch_load_b128 v[1:4], off, off offset:52 th:TH_LOAD_LU ; 16-byte Folded Reload
	s_wait_loadcnt 0x0
	ds_store_b128 v0, v[1:4]
	ds_store_b128 v0, v[148:151] offset:16
	ds_store_b128 v0, v[152:155] offset:32
	;; [unrolled: 1-line block ×6, first 2 shown]
	scratch_load_b128 v[1:4], off, off offset:180 th:TH_LOAD_LU ; 16-byte Folded Reload
	s_wait_loadcnt 0x0
	ds_store_b128 v0, v[1:4] offset:112
	scratch_load_b128 v[1:4], off, off offset:84 th:TH_LOAD_LU ; 16-byte Folded Reload
	s_wait_loadcnt 0x0
	ds_store_b128 v0, v[1:4] offset:128
	;; [unrolled: 3-line block ×5, first 2 shown]
	ds_store_b128 v0, v[122:125] offset:192
	s_clause 0x2
	scratch_load_b32 v124, off, off offset:48
	scratch_load_b32 v123, off, off offset:44
	;; [unrolled: 1-line block ×3, first 2 shown]
	ds_store_b128 v0, v[126:129] offset:208
	ds_store_b128 v0, v[164:167] offset:224
	;; [unrolled: 1-line block ×4, first 2 shown]
.LBB0_13:
	s_or_b32 exec_lo, exec_lo, s33
	global_wb scope:SCOPE_SE
	s_wait_storecnt 0x0
	s_wait_loadcnt_dscnt 0x0
	s_barrier_signal -1
	s_barrier_wait -1
	global_inv scope:SCOPE_SE
	ds_load_b128 v[0:3], v133 offset:544
	ds_load_b128 v[4:7], v133 offset:1088
	;; [unrolled: 1-line block ×12, first 2 shown]
	s_mov_b32 s0, 0x37e14327
	s_mov_b32 s2, 0x36b3c0b5
	;; [unrolled: 1-line block ×9, first 2 shown]
	s_wait_dscnt 0xb
	v_mul_f64_e32 v[12:13], v[18:19], v[2:3]
	v_mul_f64_e32 v[14:15], v[18:19], v[0:1]
	s_wait_dscnt 0xa
	v_mul_f64_e32 v[36:37], v[240:241], v[6:7]
	v_mul_f64_e32 v[38:39], v[240:241], v[4:5]
	s_wait_dscnt 0x9
	v_mul_f64_e32 v[40:41], v[30:31], v[10:11]
	v_mul_f64_e32 v[42:43], v[30:31], v[8:9]
	s_wait_dscnt 0x8
	v_mul_f64_e32 v[44:45], v[34:35], v[66:67]
	v_mul_f64_e32 v[46:47], v[34:35], v[64:65]
	s_wait_dscnt 0x7
	v_mul_f64_e32 v[48:49], v[18:19], v[70:71]
	v_mul_f64_e32 v[18:19], v[18:19], v[68:69]
	s_wait_dscnt 0x6
	v_mul_f64_e32 v[50:51], v[240:241], v[74:75]
	v_mul_f64_e32 v[52:53], v[240:241], v[72:73]
	s_wait_dscnt 0x5
	v_mul_f64_e32 v[54:55], v[30:31], v[78:79]
	v_mul_f64_e32 v[30:31], v[30:31], v[76:77]
	s_wait_dscnt 0x4
	v_mul_f64_e32 v[56:57], v[34:35], v[82:83]
	v_mul_f64_e32 v[34:35], v[34:35], v[80:81]
	s_wait_dscnt 0x2
	v_mul_f64_e32 v[58:59], v[26:27], v[90:91]
	v_mul_f64_e32 v[60:61], v[26:27], v[88:89]
	v_mul_f64_e32 v[62:63], v[22:23], v[86:87]
	v_mul_f64_e32 v[100:101], v[22:23], v[84:85]
	s_mov_b32 s18, 0xb247c609
	s_mov_b32 s17, 0xbff2aaaa
	;; [unrolled: 1-line block ×4, first 2 shown]
	s_wait_alu 0xfffe
	s_mov_b32 s20, s18
	v_fma_f64 v[0:1], v[16:17], v[0:1], v[12:13]
	v_fma_f64 v[2:3], v[16:17], v[2:3], -v[14:15]
	v_fma_f64 v[4:5], v[238:239], v[4:5], v[36:37]
	v_fma_f64 v[6:7], v[238:239], v[6:7], -v[38:39]
	;; [unrolled: 2-line block ×4, first 2 shown]
	s_wait_dscnt 0x1
	v_mul_f64_e32 v[36:37], v[26:27], v[94:95]
	v_mul_f64_e32 v[26:27], v[26:27], v[92:93]
	s_wait_dscnt 0x0
	v_mul_f64_e32 v[38:39], v[22:23], v[98:99]
	v_mul_f64_e32 v[22:23], v[22:23], v[96:97]
	v_fma_f64 v[40:41], v[16:17], v[68:69], v[48:49]
	v_fma_f64 v[16:17], v[16:17], v[70:71], -v[18:19]
	v_fma_f64 v[18:19], v[238:239], v[72:73], v[50:51]
	v_fma_f64 v[42:43], v[238:239], v[74:75], -v[52:53]
	;; [unrolled: 2-line block ×6, first 2 shown]
	v_add_f64_e32 v[52:53], v[0:1], v[8:9]
	v_add_f64_e32 v[54:55], v[2:3], v[10:11]
	;; [unrolled: 1-line block ×4, first 2 shown]
	v_fma_f64 v[36:37], v[24:25], v[92:93], v[36:37]
	v_fma_f64 v[24:25], v[24:25], v[94:95], -v[26:27]
	v_fma_f64 v[26:27], v[20:21], v[96:97], v[38:39]
	v_fma_f64 v[20:21], v[20:21], v[98:99], -v[22:23]
	v_add_f64_e64 v[12:13], v[4:5], -v[12:13]
	v_add_f64_e64 v[14:15], v[6:7], -v[14:15]
	;; [unrolled: 1-line block ×4, first 2 shown]
	v_add_f64_e32 v[22:23], v[40:41], v[44:45]
	v_add_f64_e32 v[38:39], v[16:17], v[28:29]
	v_add_f64_e32 v[60:61], v[18:19], v[30:31]
	v_add_f64_e32 v[62:63], v[42:43], v[32:33]
	v_add_f64_e64 v[18:19], v[18:19], -v[30:31]
	v_add_f64_e64 v[30:31], v[42:43], -v[32:33]
	v_add_f64_e32 v[64:65], v[34:35], v[48:49]
	v_add_f64_e32 v[66:67], v[46:47], v[50:51]
	v_add_f64_e64 v[34:35], v[48:49], -v[34:35]
	v_add_f64_e64 v[46:47], v[50:51], -v[46:47]
	;; [unrolled: 1-line block ×3, first 2 shown]
	ds_load_b128 v[0:3], v133
	ds_load_b128 v[4:7], v133 offset:272
	global_wb scope:SCOPE_SE
	s_wait_dscnt 0x0
	s_barrier_signal -1
	s_barrier_wait -1
	global_inv scope:SCOPE_SE
	v_add_f64_e32 v[48:49], v[56:57], v[52:53]
	v_add_f64_e32 v[50:51], v[58:59], v[54:55]
	;; [unrolled: 1-line block ×4, first 2 shown]
	v_add_f64_e64 v[26:27], v[26:27], -v[36:37]
	v_add_f64_e64 v[20:21], v[20:21], -v[24:25]
	v_add_f64_e64 v[24:25], v[40:41], -v[44:45]
	v_add_f64_e64 v[76:77], v[12:13], -v[8:9]
	v_add_f64_e64 v[78:79], v[14:15], -v[10:11]
	v_add_f64_e32 v[28:29], v[60:61], v[22:23]
	v_add_f64_e32 v[36:37], v[62:63], v[38:39]
	v_add_f64_e64 v[40:41], v[52:53], -v[64:65]
	v_add_f64_e64 v[44:45], v[54:55], -v[66:67]
	;; [unrolled: 1-line block ×9, first 2 shown]
	v_add_f64_e32 v[12:13], v[34:35], v[12:13]
	v_add_f64_e32 v[14:15], v[46:47], v[14:15]
	v_add_f64_e64 v[34:35], v[8:9], -v[34:35]
	v_add_f64_e64 v[46:47], v[10:11], -v[46:47]
	v_add_f64_e32 v[48:49], v[64:65], v[48:49]
	v_add_f64_e32 v[50:51], v[66:67], v[50:51]
	v_add_f64_e64 v[64:65], v[22:23], -v[32:33]
	v_add_f64_e64 v[66:67], v[38:39], -v[42:43]
	;; [unrolled: 1-line block ×5, first 2 shown]
	v_add_f64_e32 v[18:19], v[26:27], v[18:19]
	v_add_f64_e32 v[30:31], v[20:21], v[30:31]
	v_mul_f64_e32 v[88:89], s[14:15], v[76:77]
	v_add_f64_e32 v[28:29], v[32:33], v[28:29]
	v_add_f64_e32 v[36:37], v[42:43], v[36:37]
	v_add_f64_e64 v[32:33], v[32:33], -v[60:61]
	v_add_f64_e64 v[42:43], v[42:43], -v[62:63]
	v_mul_f64_e32 v[40:41], s[0:1], v[40:41]
	v_mul_f64_e32 v[44:45], s[0:1], v[44:45]
	;; [unrolled: 1-line block ×7, first 2 shown]
	v_add_f64_e64 v[26:27], v[24:25], -v[26:27]
	v_add_f64_e64 v[20:21], v[16:17], -v[20:21]
	v_mul_f64_e32 v[94:95], s[14:15], v[86:87]
	v_add_f64_e64 v[22:23], v[60:61], -v[22:23]
	v_add_f64_e64 v[38:39], v[62:63], -v[38:39]
	v_add_f64_e32 v[8:9], v[12:13], v[8:9]
	v_add_f64_e32 v[10:11], v[14:15], v[10:11]
	;; [unrolled: 1-line block ×4, first 2 shown]
	v_mul_f64_e32 v[64:65], s[0:1], v[64:65]
	v_mul_f64_e32 v[66:67], s[0:1], v[66:67]
	;; [unrolled: 1-line block ×5, first 2 shown]
	s_mov_b32 s0, 0x5476071b
	s_mov_b32 s1, 0x3fe77f67
	;; [unrolled: 1-line block ×3, first 2 shown]
	v_add_f64_e32 v[4:5], v[4:5], v[28:29]
	v_add_f64_e32 v[6:7], v[6:7], v[36:37]
	v_mul_f64_e32 v[60:61], s[2:3], v[32:33]
	v_mul_f64_e32 v[62:63], s[2:3], v[42:43]
	s_wait_alu 0xfffe
	s_mov_b32 s10, s0
	v_add_f64_e32 v[12:13], v[18:19], v[24:25]
	v_add_f64_e32 v[14:15], v[30:31], v[16:17]
	v_fma_f64 v[16:17], v[68:69], s[2:3], v[40:41]
	v_fma_f64 v[18:19], v[70:71], s[2:3], v[44:45]
	v_fma_f64 v[24:25], v[52:53], s[0:1], -v[56:57]
	v_fma_f64 v[30:31], v[54:55], s[0:1], -v[58:59]
	v_fma_f64 v[56:57], v[34:35], s[18:19], v[72:73]
	v_fma_f64 v[58:59], v[46:47], s[18:19], v[74:75]
	v_fma_f64 v[68:69], v[76:77], s[14:15], -v[72:73]
	v_fma_f64 v[70:71], v[78:79], s[14:15], -v[74:75]
	;; [unrolled: 1-line block ×4, first 2 shown]
	s_wait_alu 0xfffe
	v_fma_f64 v[40:41], v[52:53], s[10:11], -v[40:41]
	v_fma_f64 v[44:45], v[54:55], s[10:11], -v[44:45]
	v_fma_f64 v[48:49], v[48:49], s[16:17], v[0:1]
	v_fma_f64 v[50:51], v[50:51], s[16:17], v[2:3]
	;; [unrolled: 1-line block ×6, first 2 shown]
	v_fma_f64 v[26:27], v[26:27], s[20:21], -v[92:93]
	v_fma_f64 v[20:21], v[20:21], s[20:21], -v[94:95]
	;; [unrolled: 1-line block ×4, first 2 shown]
	v_fma_f64 v[28:29], v[28:29], s[16:17], v[4:5]
	v_fma_f64 v[36:37], v[36:37], s[16:17], v[6:7]
	v_fma_f64 v[72:73], v[84:85], s[14:15], -v[80:81]
	v_fma_f64 v[74:75], v[86:87], s[14:15], -v[82:83]
	v_fma_f64 v[22:23], v[22:23], s[0:1], -v[60:61]
	v_fma_f64 v[38:39], v[38:39], s[0:1], -v[62:63]
	s_mov_b32 s0, 0x37c3f68c
	s_mov_b32 s1, 0xbfdc38aa
	s_wait_alu 0xfffe
	v_fma_f64 v[56:57], v[8:9], s[0:1], v[56:57]
	v_fma_f64 v[58:59], v[10:11], s[0:1], v[58:59]
	;; [unrolled: 1-line block ×6, first 2 shown]
	v_add_f64_e32 v[68:69], v[16:17], v[48:49]
	v_add_f64_e32 v[70:71], v[18:19], v[50:51]
	;; [unrolled: 1-line block ×6, first 2 shown]
	v_fma_f64 v[48:49], v[12:13], s[0:1], v[52:53]
	v_fma_f64 v[50:51], v[14:15], s[0:1], v[54:55]
	;; [unrolled: 1-line block ×4, first 2 shown]
	v_add_f64_e32 v[80:81], v[32:33], v[28:29]
	v_add_f64_e32 v[42:43], v[42:43], v[36:37]
	;; [unrolled: 1-line block ×4, first 2 shown]
	v_fma_f64 v[52:53], v[12:13], s[0:1], v[72:73]
	v_fma_f64 v[54:55], v[14:15], s[0:1], v[74:75]
	v_add_f64_e32 v[72:73], v[22:23], v[28:29]
	v_add_f64_e32 v[36:37], v[38:39], v[36:37]
	s_and_b32 s0, exec_lo, vcc_lo
	v_add_f64_e32 v[8:9], v[58:59], v[68:69]
	v_add_f64_e64 v[10:11], v[70:71], -v[56:57]
	v_add_f64_e32 v[12:13], v[46:47], v[40:41]
	v_add_f64_e64 v[14:15], v[44:45], -v[34:35]
	v_add_f64_e64 v[16:17], v[24:25], -v[62:63]
	v_add_f64_e32 v[18:19], v[60:61], v[30:31]
	v_add_f64_e32 v[20:21], v[62:63], v[24:25]
	v_add_f64_e64 v[22:23], v[30:31], -v[60:61]
	v_add_f64_e64 v[24:25], v[40:41], -v[46:47]
	v_add_f64_e32 v[26:27], v[34:35], v[44:45]
	v_add_f64_e64 v[28:29], v[68:69], -v[58:59]
	v_add_f64_e32 v[30:31], v[56:57], v[70:71]
	v_add_f64_e32 v[32:33], v[50:51], v[80:81]
	v_add_f64_e64 v[34:35], v[42:43], -v[48:49]
	v_add_f64_e32 v[64:65], v[76:77], v[82:83]
	v_add_f64_e64 v[66:67], v[84:85], -v[78:79]
	v_add_f64_e64 v[76:77], v[82:83], -v[76:77]
	v_add_f64_e32 v[78:79], v[78:79], v[84:85]
	v_add_f64_e64 v[68:69], v[72:73], -v[54:55]
	v_add_f64_e32 v[70:71], v[52:53], v[36:37]
	v_add_f64_e32 v[72:73], v[54:55], v[72:73]
	v_add_f64_e64 v[74:75], v[36:37], -v[52:53]
	v_add_f64_e64 v[80:81], v[80:81], -v[50:51]
	v_add_f64_e32 v[82:83], v[48:49], v[42:43]
	ds_store_b128 v133, v[0:3]
	ds_store_b128 v133, v[8:11] offset:272
	ds_store_b128 v133, v[12:15] offset:544
	;; [unrolled: 1-line block ×13, first 2 shown]
	global_wb scope:SCOPE_SE
	s_wait_dscnt 0x0
	s_barrier_signal -1
	s_barrier_wait -1
	global_inv scope:SCOPE_SE
	ds_load_b128 v[0:3], v133 offset:1904
	ds_load_b128 v[4:7], v133 offset:2176
	;; [unrolled: 1-line block ×8, first 2 shown]
	s_wait_dscnt 0x7
	v_mul_f64_e32 v[32:33], v[200:201], v[2:3]
	v_mul_f64_e32 v[34:35], v[200:201], v[0:1]
	s_wait_dscnt 0x6
	v_mul_f64_e32 v[36:37], v[204:205], v[6:7]
	v_mul_f64_e32 v[38:39], v[204:205], v[4:5]
	s_wait_dscnt 0x5
	v_mul_f64_e32 v[40:41], v[208:209], v[10:11]
	v_mul_f64_e32 v[42:43], v[208:209], v[8:9]
	s_wait_dscnt 0x4
	v_mul_f64_e32 v[44:45], v[251:252], v[14:15]
	v_mul_f64_e32 v[46:47], v[251:252], v[12:13]
	s_wait_dscnt 0x3
	v_mul_f64_e32 v[48:49], v[216:217], v[18:19]
	v_mul_f64_e32 v[50:51], v[216:217], v[16:17]
	s_wait_dscnt 0x2
	v_mul_f64_e32 v[52:53], v[220:221], v[22:23]
	v_mul_f64_e32 v[54:55], v[220:221], v[20:21]
	s_wait_dscnt 0x1
	v_mul_f64_e32 v[56:57], v[224:225], v[26:27]
	v_mul_f64_e32 v[58:59], v[224:225], v[24:25]
	v_fma_f64 v[32:33], v[198:199], v[0:1], v[32:33]
	v_fma_f64 v[34:35], v[198:199], v[2:3], -v[34:35]
	v_fma_f64 v[36:37], v[202:203], v[4:5], v[36:37]
	v_fma_f64 v[38:39], v[202:203], v[6:7], -v[38:39]
	;; [unrolled: 2-line block ×7, first 2 shown]
	ds_load_b128 v[0:3], v133
	ds_load_b128 v[4:7], v133 offset:272
	ds_load_b128 v[8:11], v133 offset:544
	;; [unrolled: 1-line block ×5, first 2 shown]
	s_wait_dscnt 0x5
	v_add_f64_e64 v[24:25], v[0:1], -v[32:33]
	v_add_f64_e64 v[26:27], v[2:3], -v[34:35]
	s_wait_dscnt 0x4
	v_add_f64_e64 v[32:33], v[4:5], -v[36:37]
	v_add_f64_e64 v[34:35], v[6:7], -v[38:39]
	s_wait_dscnt 0x3
	v_add_f64_e64 v[36:37], v[8:9], -v[40:41]
	v_add_f64_e64 v[38:39], v[10:11], -v[42:43]
	s_wait_dscnt 0x2
	v_add_f64_e64 v[40:41], v[12:13], -v[44:45]
	v_add_f64_e64 v[42:43], v[14:15], -v[46:47]
	s_wait_dscnt 0x1
	v_add_f64_e64 v[44:45], v[16:17], -v[48:49]
	v_add_f64_e64 v[46:47], v[18:19], -v[50:51]
	s_wait_dscnt 0x0
	v_add_f64_e64 v[48:49], v[20:21], -v[52:53]
	v_add_f64_e64 v[50:51], v[22:23], -v[54:55]
	v_add_f64_e64 v[52:53], v[28:29], -v[56:57]
	v_add_f64_e64 v[54:55], v[30:31], -v[58:59]
	v_fma_f64 v[0:1], v[0:1], 2.0, -v[24:25]
	v_fma_f64 v[2:3], v[2:3], 2.0, -v[26:27]
	;; [unrolled: 1-line block ×14, first 2 shown]
	ds_store_b128 v134, v[32:35] offset:2176
	ds_store_b128 v134, v[0:3]
	ds_store_b128 v134, v[4:7] offset:272
	ds_store_b128 v134, v[24:27] offset:1904
	;; [unrolled: 1-line block ×12, first 2 shown]
	global_wb scope:SCOPE_SE
	s_wait_dscnt 0x0
	s_barrier_signal -1
	s_barrier_wait -1
	global_inv scope:SCOPE_SE
	scratch_load_b64 v[15:16], off, off     ; 8-byte Folded Reload
	s_wait_alu 0xfffe
	s_mov_b32 exec_lo, s0
	s_cbranch_execz .LBB0_15
; %bb.14:
	global_load_b128 v[3:6], v242, s[8:9]
	ds_load_b128 v[7:10], v134
	v_lshl_add_u32 v2, v132, 4, v242
	s_mov_b32 s0, 0x1135c811
	s_mov_b32 s1, 0x3f7135c8
	s_mul_u64 s[2:3], s[4:5], 0xe0
	ds_load_b128 v[11:14], v2 offset:224
	s_wait_loadcnt_dscnt 0x1
	v_mul_f64_e32 v[0:1], v[9:10], v[5:6]
	v_mul_f64_e32 v[5:6], v[7:8], v[5:6]
	s_delay_alu instid0(VALU_DEP_2) | instskip(NEXT) | instid1(VALU_DEP_2)
	v_fma_f64 v[0:1], v[7:8], v[3:4], v[0:1]
	v_fma_f64 v[5:6], v[3:4], v[9:10], -v[5:6]
	v_mad_co_u64_u32 v[7:8], null, s6, v15, 0
	v_mad_co_u64_u32 v[9:10], null, s4, v244, 0
	s_wait_alu 0xfffe
	s_delay_alu instid0(VALU_DEP_4) | instskip(NEXT) | instid1(VALU_DEP_4)
	v_mul_f64_e32 v[3:4], s[0:1], v[0:1]
	v_mul_f64_e32 v[5:6], s[0:1], v[5:6]
	s_delay_alu instid0(VALU_DEP_3) | instskip(NEXT) | instid1(VALU_DEP_1)
	v_dual_mov_b32 v0, v8 :: v_dual_mov_b32 v1, v10
	v_mad_co_u64_u32 v[15:16], null, s7, v15, v[0:1]
	v_mad_co_u64_u32 v[0:1], null, s5, v244, v[1:2]
	s_delay_alu instid0(VALU_DEP_2) | instskip(NEXT) | instid1(VALU_DEP_2)
	v_mov_b32_e32 v8, v15
	v_mov_b32_e32 v10, v0
	s_delay_alu instid0(VALU_DEP_2) | instskip(NEXT) | instid1(VALU_DEP_2)
	v_lshlrev_b64_e32 v[0:1], 4, v[7:8]
	v_lshlrev_b64_e32 v[7:8], 4, v[9:10]
	s_delay_alu instid0(VALU_DEP_2) | instskip(NEXT) | instid1(VALU_DEP_3)
	v_add_co_u32 v0, vcc_lo, s12, v0
	v_add_co_ci_u32_e32 v1, vcc_lo, s13, v1, vcc_lo
	s_delay_alu instid0(VALU_DEP_2) | instskip(SKIP_1) | instid1(VALU_DEP_2)
	v_add_co_u32 v7, vcc_lo, v0, v7
	s_wait_alu 0xfffd
	v_add_co_ci_u32_e32 v8, vcc_lo, v1, v8, vcc_lo
	s_delay_alu instid0(VALU_DEP_2)
	v_add_co_u32 v15, vcc_lo, v7, s2
	global_store_b128 v[7:8], v[3:6], off
	global_load_b128 v[3:6], v242, s[8:9] offset:224
	s_wait_alu 0xfffd
	v_add_co_ci_u32_e32 v16, vcc_lo, s3, v8, vcc_lo
	s_wait_loadcnt_dscnt 0x0
	v_mul_f64_e32 v[9:10], v[13:14], v[5:6]
	v_mul_f64_e32 v[5:6], v[11:12], v[5:6]
	s_delay_alu instid0(VALU_DEP_2) | instskip(NEXT) | instid1(VALU_DEP_2)
	v_fma_f64 v[9:10], v[11:12], v[3:4], v[9:10]
	v_fma_f64 v[5:6], v[3:4], v[13:14], -v[5:6]
	s_delay_alu instid0(VALU_DEP_2) | instskip(NEXT) | instid1(VALU_DEP_2)
	v_mul_f64_e32 v[3:4], s[0:1], v[9:10]
	v_mul_f64_e32 v[5:6], s[0:1], v[5:6]
	global_store_b128 v[15:16], v[3:6], off
	global_load_b128 v[3:6], v242, s[8:9] offset:448
	ds_load_b128 v[7:10], v2 offset:448
	ds_load_b128 v[11:14], v2 offset:672
	s_wait_loadcnt_dscnt 0x1
	v_mul_f64_e32 v[17:18], v[9:10], v[5:6]
	v_mul_f64_e32 v[5:6], v[7:8], v[5:6]
	s_delay_alu instid0(VALU_DEP_2) | instskip(NEXT) | instid1(VALU_DEP_2)
	v_fma_f64 v[7:8], v[7:8], v[3:4], v[17:18]
	v_fma_f64 v[5:6], v[3:4], v[9:10], -v[5:6]
	s_delay_alu instid0(VALU_DEP_2) | instskip(NEXT) | instid1(VALU_DEP_2)
	v_mul_f64_e32 v[3:4], s[0:1], v[7:8]
	v_mul_f64_e32 v[5:6], s[0:1], v[5:6]
	v_add_co_u32 v7, vcc_lo, v15, s2
	s_wait_alu 0xfffd
	v_add_co_ci_u32_e32 v8, vcc_lo, s3, v16, vcc_lo
	s_delay_alu instid0(VALU_DEP_2) | instskip(SKIP_1) | instid1(VALU_DEP_2)
	v_add_co_u32 v15, vcc_lo, v7, s2
	s_wait_alu 0xfffd
	v_add_co_ci_u32_e32 v16, vcc_lo, s3, v8, vcc_lo
	global_store_b128 v[7:8], v[3:6], off
	global_load_b128 v[3:6], v242, s[8:9] offset:672
	s_wait_loadcnt_dscnt 0x0
	v_mul_f64_e32 v[9:10], v[13:14], v[5:6]
	v_mul_f64_e32 v[5:6], v[11:12], v[5:6]
	s_delay_alu instid0(VALU_DEP_2) | instskip(NEXT) | instid1(VALU_DEP_2)
	v_fma_f64 v[9:10], v[11:12], v[3:4], v[9:10]
	v_fma_f64 v[5:6], v[3:4], v[13:14], -v[5:6]
	s_delay_alu instid0(VALU_DEP_2) | instskip(NEXT) | instid1(VALU_DEP_2)
	v_mul_f64_e32 v[3:4], s[0:1], v[9:10]
	v_mul_f64_e32 v[5:6], s[0:1], v[5:6]
	global_store_b128 v[15:16], v[3:6], off
	global_load_b128 v[3:6], v242, s[8:9] offset:896
	ds_load_b128 v[7:10], v2 offset:896
	ds_load_b128 v[11:14], v2 offset:1120
	s_wait_loadcnt_dscnt 0x1
	v_mul_f64_e32 v[17:18], v[9:10], v[5:6]
	v_mul_f64_e32 v[5:6], v[7:8], v[5:6]
	s_delay_alu instid0(VALU_DEP_2) | instskip(NEXT) | instid1(VALU_DEP_2)
	v_fma_f64 v[7:8], v[7:8], v[3:4], v[17:18]
	v_fma_f64 v[5:6], v[3:4], v[9:10], -v[5:6]
	s_delay_alu instid0(VALU_DEP_2) | instskip(NEXT) | instid1(VALU_DEP_2)
	v_mul_f64_e32 v[3:4], s[0:1], v[7:8]
	v_mul_f64_e32 v[5:6], s[0:1], v[5:6]
	v_add_co_u32 v7, vcc_lo, v15, s2
	s_wait_alu 0xfffd
	v_add_co_ci_u32_e32 v8, vcc_lo, s3, v16, vcc_lo
	s_delay_alu instid0(VALU_DEP_2) | instskip(SKIP_1) | instid1(VALU_DEP_2)
	v_add_co_u32 v15, vcc_lo, v7, s2
	s_wait_alu 0xfffd
	v_add_co_ci_u32_e32 v16, vcc_lo, s3, v8, vcc_lo
	global_store_b128 v[7:8], v[3:6], off
	global_load_b128 v[3:6], v242, s[8:9] offset:1120
	;; [unrolled: 31-line block ×3, first 2 shown]
	s_wait_loadcnt_dscnt 0x0
	v_mul_f64_e32 v[9:10], v[13:14], v[5:6]
	v_mul_f64_e32 v[5:6], v[11:12], v[5:6]
	s_delay_alu instid0(VALU_DEP_2) | instskip(NEXT) | instid1(VALU_DEP_2)
	v_fma_f64 v[9:10], v[11:12], v[3:4], v[9:10]
	v_fma_f64 v[5:6], v[3:4], v[13:14], -v[5:6]
	s_delay_alu instid0(VALU_DEP_2) | instskip(NEXT) | instid1(VALU_DEP_2)
	v_mul_f64_e32 v[3:4], s[0:1], v[9:10]
	v_mul_f64_e32 v[5:6], s[0:1], v[5:6]
	global_store_b128 v[15:16], v[3:6], off
	global_load_b128 v[3:6], v242, s[8:9] offset:1792
	ds_load_b128 v[7:10], v2 offset:1792
	ds_load_b128 v[11:14], v2 offset:2016
	v_mad_co_u64_u32 v[15:16], null, 0x1c0, s4, v[15:16]
	s_wait_loadcnt_dscnt 0x1
	v_mul_f64_e32 v[17:18], v[9:10], v[5:6]
	v_mul_f64_e32 v[5:6], v[7:8], v[5:6]
	s_delay_alu instid0(VALU_DEP_2) | instskip(NEXT) | instid1(VALU_DEP_2)
	v_fma_f64 v[7:8], v[7:8], v[3:4], v[17:18]
	v_fma_f64 v[5:6], v[3:4], v[9:10], -v[5:6]
	v_mad_co_u64_u32 v[9:10], null, s4, v243, 0
	s_delay_alu instid0(VALU_DEP_3) | instskip(NEXT) | instid1(VALU_DEP_3)
	v_mul_f64_e32 v[3:4], s[0:1], v[7:8]
	v_mul_f64_e32 v[5:6], s[0:1], v[5:6]
	s_delay_alu instid0(VALU_DEP_3) | instskip(NEXT) | instid1(VALU_DEP_1)
	v_mov_b32_e32 v7, v10
	v_mad_co_u64_u32 v[7:8], null, s5, v243, v[7:8]
	s_delay_alu instid0(VALU_DEP_1) | instskip(NEXT) | instid1(VALU_DEP_1)
	v_mov_b32_e32 v10, v7
	v_lshlrev_b64_e32 v[7:8], 4, v[9:10]
	s_delay_alu instid0(VALU_DEP_1) | instskip(SKIP_1) | instid1(VALU_DEP_2)
	v_add_co_u32 v7, vcc_lo, v0, v7
	s_wait_alu 0xfffd
	v_add_co_ci_u32_e32 v8, vcc_lo, v1, v8, vcc_lo
	global_store_b128 v[7:8], v[3:6], off
	global_load_b128 v[3:6], v242, s[8:9] offset:2016
	s_wait_loadcnt_dscnt 0x0
	v_mul_f64_e32 v[7:8], v[13:14], v[5:6]
	v_mul_f64_e32 v[5:6], v[11:12], v[5:6]
	s_delay_alu instid0(VALU_DEP_2) | instskip(NEXT) | instid1(VALU_DEP_2)
	v_fma_f64 v[7:8], v[11:12], v[3:4], v[7:8]
	v_fma_f64 v[5:6], v[3:4], v[13:14], -v[5:6]
	s_delay_alu instid0(VALU_DEP_2) | instskip(SKIP_1) | instid1(VALU_DEP_3)
	v_mul_f64_e32 v[3:4], s[0:1], v[7:8]
	v_mov_b32_e32 v7, v16
	v_mul_f64_e32 v[5:6], s[0:1], v[5:6]
	s_delay_alu instid0(VALU_DEP_2) | instskip(NEXT) | instid1(VALU_DEP_1)
	v_mad_co_u64_u32 v[7:8], null, 0x1c0, s5, v[7:8]
	v_mov_b32_e32 v16, v7
	global_store_b128 v[15:16], v[3:6], off
	global_load_b128 v[3:6], v242, s[8:9] offset:2240
	ds_load_b128 v[7:10], v2 offset:2240
	ds_load_b128 v[11:14], v2 offset:2464
	s_wait_loadcnt_dscnt 0x1
	v_mul_f64_e32 v[17:18], v[9:10], v[5:6]
	v_mul_f64_e32 v[5:6], v[7:8], v[5:6]
	s_delay_alu instid0(VALU_DEP_2) | instskip(NEXT) | instid1(VALU_DEP_2)
	v_fma_f64 v[7:8], v[7:8], v[3:4], v[17:18]
	v_fma_f64 v[5:6], v[3:4], v[9:10], -v[5:6]
	s_delay_alu instid0(VALU_DEP_2) | instskip(NEXT) | instid1(VALU_DEP_2)
	v_mul_f64_e32 v[3:4], s[0:1], v[7:8]
	v_mul_f64_e32 v[5:6], s[0:1], v[5:6]
	v_add_co_u32 v7, vcc_lo, v15, s2
	s_wait_alu 0xfffd
	v_add_co_ci_u32_e32 v8, vcc_lo, s3, v16, vcc_lo
	s_delay_alu instid0(VALU_DEP_2) | instskip(SKIP_1) | instid1(VALU_DEP_2)
	v_add_co_u32 v15, vcc_lo, v7, s2
	s_wait_alu 0xfffd
	v_add_co_ci_u32_e32 v16, vcc_lo, s3, v8, vcc_lo
	global_store_b128 v[7:8], v[3:6], off
	global_load_b128 v[3:6], v242, s[8:9] offset:2464
	s_wait_loadcnt_dscnt 0x0
	v_mul_f64_e32 v[9:10], v[13:14], v[5:6]
	v_mul_f64_e32 v[5:6], v[11:12], v[5:6]
	s_delay_alu instid0(VALU_DEP_2) | instskip(NEXT) | instid1(VALU_DEP_2)
	v_fma_f64 v[9:10], v[11:12], v[3:4], v[9:10]
	v_fma_f64 v[5:6], v[3:4], v[13:14], -v[5:6]
	s_delay_alu instid0(VALU_DEP_2) | instskip(NEXT) | instid1(VALU_DEP_2)
	v_mul_f64_e32 v[3:4], s[0:1], v[9:10]
	v_mul_f64_e32 v[5:6], s[0:1], v[5:6]
	global_store_b128 v[15:16], v[3:6], off
	global_load_b128 v[3:6], v242, s[8:9] offset:2688
	ds_load_b128 v[7:10], v2 offset:2688
	ds_load_b128 v[11:14], v2 offset:2912
	s_wait_loadcnt_dscnt 0x1
	v_mul_f64_e32 v[17:18], v[9:10], v[5:6]
	v_mul_f64_e32 v[5:6], v[7:8], v[5:6]
	s_delay_alu instid0(VALU_DEP_2) | instskip(NEXT) | instid1(VALU_DEP_2)
	v_fma_f64 v[7:8], v[7:8], v[3:4], v[17:18]
	v_fma_f64 v[5:6], v[3:4], v[9:10], -v[5:6]
	s_delay_alu instid0(VALU_DEP_2) | instskip(NEXT) | instid1(VALU_DEP_2)
	v_mul_f64_e32 v[3:4], s[0:1], v[7:8]
	v_mul_f64_e32 v[5:6], s[0:1], v[5:6]
	v_add_co_u32 v7, vcc_lo, v15, s2
	s_wait_alu 0xfffd
	v_add_co_ci_u32_e32 v8, vcc_lo, s3, v16, vcc_lo
	s_delay_alu instid0(VALU_DEP_2) | instskip(SKIP_1) | instid1(VALU_DEP_2)
	v_add_co_u32 v15, vcc_lo, v7, s2
	s_wait_alu 0xfffd
	v_add_co_ci_u32_e32 v16, vcc_lo, s3, v8, vcc_lo
	global_store_b128 v[7:8], v[3:6], off
	global_load_b128 v[3:6], v242, s[8:9] offset:2912
	s_wait_loadcnt_dscnt 0x0
	v_mul_f64_e32 v[9:10], v[13:14], v[5:6]
	v_mul_f64_e32 v[5:6], v[11:12], v[5:6]
	s_delay_alu instid0(VALU_DEP_2) | instskip(NEXT) | instid1(VALU_DEP_2)
	v_fma_f64 v[9:10], v[11:12], v[3:4], v[9:10]
	v_fma_f64 v[5:6], v[3:4], v[13:14], -v[5:6]
	s_delay_alu instid0(VALU_DEP_2) | instskip(NEXT) | instid1(VALU_DEP_2)
	v_mul_f64_e32 v[3:4], s[0:1], v[9:10]
	v_mul_f64_e32 v[5:6], s[0:1], v[5:6]
	global_store_b128 v[15:16], v[3:6], off
	global_load_b128 v[3:6], v242, s[8:9] offset:3136
	ds_load_b128 v[7:10], v2 offset:3136
	ds_load_b128 v[11:14], v2 offset:3360
	s_wait_loadcnt_dscnt 0x1
	v_mul_f64_e32 v[17:18], v[9:10], v[5:6]
	v_mul_f64_e32 v[5:6], v[7:8], v[5:6]
	s_delay_alu instid0(VALU_DEP_2) | instskip(NEXT) | instid1(VALU_DEP_2)
	v_fma_f64 v[7:8], v[7:8], v[3:4], v[17:18]
	v_fma_f64 v[5:6], v[3:4], v[9:10], -v[5:6]
	s_delay_alu instid0(VALU_DEP_2) | instskip(NEXT) | instid1(VALU_DEP_2)
	v_mul_f64_e32 v[3:4], s[0:1], v[7:8]
	v_mul_f64_e32 v[5:6], s[0:1], v[5:6]
	v_add_co_u32 v7, vcc_lo, v15, s2
	s_wait_alu 0xfffd
	v_add_co_ci_u32_e32 v8, vcc_lo, s3, v16, vcc_lo
	global_store_b128 v[7:8], v[3:6], off
	global_load_b128 v[3:6], v242, s[8:9] offset:3360
	v_add_co_u32 v7, vcc_lo, v7, s2
	s_wait_alu 0xfffd
	v_add_co_ci_u32_e32 v8, vcc_lo, s3, v8, vcc_lo
	s_wait_loadcnt_dscnt 0x0
	v_mul_f64_e32 v[9:10], v[13:14], v[5:6]
	v_mul_f64_e32 v[5:6], v[11:12], v[5:6]
	s_delay_alu instid0(VALU_DEP_2) | instskip(NEXT) | instid1(VALU_DEP_2)
	v_fma_f64 v[9:10], v[11:12], v[3:4], v[9:10]
	v_fma_f64 v[5:6], v[3:4], v[13:14], -v[5:6]
	s_delay_alu instid0(VALU_DEP_2) | instskip(NEXT) | instid1(VALU_DEP_2)
	v_mul_f64_e32 v[3:4], s[0:1], v[9:10]
	v_mul_f64_e32 v[5:6], s[0:1], v[5:6]
	global_store_b128 v[7:8], v[3:6], off
	global_load_b128 v[3:6], v242, s[8:9] offset:3584
	ds_load_b128 v[7:10], v2 offset:3584
	s_wait_loadcnt_dscnt 0x0
	v_mul_f64_e32 v[11:12], v[9:10], v[5:6]
	v_mul_f64_e32 v[5:6], v[7:8], v[5:6]
	s_delay_alu instid0(VALU_DEP_2) | instskip(SKIP_3) | instid1(VALU_DEP_2)
	v_fma_f64 v[7:8], v[7:8], v[3:4], v[11:12]
	scratch_load_b32 v11, off, off offset:8 th:TH_LOAD_LU ; 4-byte Folded Reload
	v_fma_f64 v[4:5], v[3:4], v[9:10], -v[5:6]
	v_mul_f64_e32 v[2:3], s[0:1], v[7:8]
	v_mul_f64_e32 v[4:5], s[0:1], v[4:5]
	s_wait_loadcnt 0x0
	v_mad_co_u64_u32 v[9:10], null, s4, v11, 0
	s_delay_alu instid0(VALU_DEP_1) | instskip(NEXT) | instid1(VALU_DEP_1)
	v_mov_b32_e32 v6, v10
	v_mad_co_u64_u32 v[6:7], null, s5, v11, v[6:7]
	s_delay_alu instid0(VALU_DEP_1) | instskip(NEXT) | instid1(VALU_DEP_1)
	v_mov_b32_e32 v10, v6
	v_lshlrev_b64_e32 v[6:7], 4, v[9:10]
	s_delay_alu instid0(VALU_DEP_1) | instskip(SKIP_1) | instid1(VALU_DEP_2)
	v_add_co_u32 v0, vcc_lo, v0, v6
	s_wait_alu 0xfffd
	v_add_co_ci_u32_e32 v1, vcc_lo, v1, v7, vcc_lo
	global_store_b128 v[0:1], v[2:5], off
.LBB0_15:
	s_nop 0
	s_sendmsg sendmsg(MSG_DEALLOC_VGPRS)
	s_endpgm
	.section	.rodata,"a",@progbits
	.p2align	6, 0x0
	.amdhsa_kernel bluestein_single_back_len238_dim1_dp_op_CI_CI
		.amdhsa_group_segment_fixed_size 11424
		.amdhsa_private_segment_fixed_size 324
		.amdhsa_kernarg_size 104
		.amdhsa_user_sgpr_count 2
		.amdhsa_user_sgpr_dispatch_ptr 0
		.amdhsa_user_sgpr_queue_ptr 0
		.amdhsa_user_sgpr_kernarg_segment_ptr 1
		.amdhsa_user_sgpr_dispatch_id 0
		.amdhsa_user_sgpr_private_segment_size 0
		.amdhsa_wavefront_size32 1
		.amdhsa_uses_dynamic_stack 0
		.amdhsa_enable_private_segment 1
		.amdhsa_system_sgpr_workgroup_id_x 1
		.amdhsa_system_sgpr_workgroup_id_y 0
		.amdhsa_system_sgpr_workgroup_id_z 0
		.amdhsa_system_sgpr_workgroup_info 0
		.amdhsa_system_vgpr_workitem_id 0
		.amdhsa_next_free_vgpr 256
		.amdhsa_next_free_sgpr 58
		.amdhsa_reserve_vcc 1
		.amdhsa_float_round_mode_32 0
		.amdhsa_float_round_mode_16_64 0
		.amdhsa_float_denorm_mode_32 3
		.amdhsa_float_denorm_mode_16_64 3
		.amdhsa_fp16_overflow 0
		.amdhsa_workgroup_processor_mode 1
		.amdhsa_memory_ordered 1
		.amdhsa_forward_progress 0
		.amdhsa_round_robin_scheduling 0
		.amdhsa_exception_fp_ieee_invalid_op 0
		.amdhsa_exception_fp_denorm_src 0
		.amdhsa_exception_fp_ieee_div_zero 0
		.amdhsa_exception_fp_ieee_overflow 0
		.amdhsa_exception_fp_ieee_underflow 0
		.amdhsa_exception_fp_ieee_inexact 0
		.amdhsa_exception_int_div_zero 0
	.end_amdhsa_kernel
	.text
.Lfunc_end0:
	.size	bluestein_single_back_len238_dim1_dp_op_CI_CI, .Lfunc_end0-bluestein_single_back_len238_dim1_dp_op_CI_CI
                                        ; -- End function
	.section	.AMDGPU.csdata,"",@progbits
; Kernel info:
; codeLenInByte = 21508
; NumSgprs: 60
; NumVgprs: 256
; ScratchSize: 324
; MemoryBound: 0
; FloatMode: 240
; IeeeMode: 1
; LDSByteSize: 11424 bytes/workgroup (compile time only)
; SGPRBlocks: 7
; VGPRBlocks: 31
; NumSGPRsForWavesPerEU: 60
; NumVGPRsForWavesPerEU: 256
; Occupancy: 5
; WaveLimiterHint : 1
; COMPUTE_PGM_RSRC2:SCRATCH_EN: 1
; COMPUTE_PGM_RSRC2:USER_SGPR: 2
; COMPUTE_PGM_RSRC2:TRAP_HANDLER: 0
; COMPUTE_PGM_RSRC2:TGID_X_EN: 1
; COMPUTE_PGM_RSRC2:TGID_Y_EN: 0
; COMPUTE_PGM_RSRC2:TGID_Z_EN: 0
; COMPUTE_PGM_RSRC2:TIDIG_COMP_CNT: 0
	.text
	.p2alignl 7, 3214868480
	.fill 96, 4, 3214868480
	.type	__hip_cuid_936c42861ab2cb2e,@object ; @__hip_cuid_936c42861ab2cb2e
	.section	.bss,"aw",@nobits
	.globl	__hip_cuid_936c42861ab2cb2e
__hip_cuid_936c42861ab2cb2e:
	.byte	0                               ; 0x0
	.size	__hip_cuid_936c42861ab2cb2e, 1

	.ident	"AMD clang version 19.0.0git (https://github.com/RadeonOpenCompute/llvm-project roc-6.4.0 25133 c7fe45cf4b819c5991fe208aaa96edf142730f1d)"
	.section	".note.GNU-stack","",@progbits
	.addrsig
	.addrsig_sym __hip_cuid_936c42861ab2cb2e
	.amdgpu_metadata
---
amdhsa.kernels:
  - .args:
      - .actual_access:  read_only
        .address_space:  global
        .offset:         0
        .size:           8
        .value_kind:     global_buffer
      - .actual_access:  read_only
        .address_space:  global
        .offset:         8
        .size:           8
        .value_kind:     global_buffer
      - .actual_access:  read_only
        .address_space:  global
        .offset:         16
        .size:           8
        .value_kind:     global_buffer
      - .actual_access:  read_only
        .address_space:  global
        .offset:         24
        .size:           8
        .value_kind:     global_buffer
      - .actual_access:  read_only
        .address_space:  global
        .offset:         32
        .size:           8
        .value_kind:     global_buffer
      - .offset:         40
        .size:           8
        .value_kind:     by_value
      - .address_space:  global
        .offset:         48
        .size:           8
        .value_kind:     global_buffer
      - .address_space:  global
        .offset:         56
        .size:           8
        .value_kind:     global_buffer
      - .address_space:  global
        .offset:         64
        .size:           8
        .value_kind:     global_buffer
      - .address_space:  global
        .offset:         72
        .size:           8
        .value_kind:     global_buffer
      - .offset:         80
        .size:           4
        .value_kind:     by_value
      - .address_space:  global
        .offset:         88
        .size:           8
        .value_kind:     global_buffer
      - .address_space:  global
        .offset:         96
        .size:           8
        .value_kind:     global_buffer
    .group_segment_fixed_size: 11424
    .kernarg_segment_align: 8
    .kernarg_segment_size: 104
    .language:       OpenCL C
    .language_version:
      - 2
      - 0
    .max_flat_workgroup_size: 51
    .name:           bluestein_single_back_len238_dim1_dp_op_CI_CI
    .private_segment_fixed_size: 324
    .sgpr_count:     60
    .sgpr_spill_count: 0
    .symbol:         bluestein_single_back_len238_dim1_dp_op_CI_CI.kd
    .uniform_work_group_size: 1
    .uses_dynamic_stack: false
    .vgpr_count:     256
    .vgpr_spill_count: 83
    .wavefront_size: 32
    .workgroup_processor_mode: 1
amdhsa.target:   amdgcn-amd-amdhsa--gfx1201
amdhsa.version:
  - 1
  - 2
...

	.end_amdgpu_metadata
